;; amdgpu-corpus repo=ROCm/rocFFT kind=compiled arch=gfx950 opt=O3
	.text
	.amdgcn_target "amdgcn-amd-amdhsa--gfx950"
	.amdhsa_code_object_version 6
	.protected	fft_rtc_fwd_len1020_factors_2_17_2_3_5_wgs_204_tpt_68_halfLds_sp_op_CI_CI_unitstride_sbrr_dirReg ; -- Begin function fft_rtc_fwd_len1020_factors_2_17_2_3_5_wgs_204_tpt_68_halfLds_sp_op_CI_CI_unitstride_sbrr_dirReg
	.globl	fft_rtc_fwd_len1020_factors_2_17_2_3_5_wgs_204_tpt_68_halfLds_sp_op_CI_CI_unitstride_sbrr_dirReg
	.p2align	8
	.type	fft_rtc_fwd_len1020_factors_2_17_2_3_5_wgs_204_tpt_68_halfLds_sp_op_CI_CI_unitstride_sbrr_dirReg,@function
fft_rtc_fwd_len1020_factors_2_17_2_3_5_wgs_204_tpt_68_halfLds_sp_op_CI_CI_unitstride_sbrr_dirReg: ; @fft_rtc_fwd_len1020_factors_2_17_2_3_5_wgs_204_tpt_68_halfLds_sp_op_CI_CI_unitstride_sbrr_dirReg
; %bb.0:
	s_load_dwordx4 s[4:7], s[0:1], 0x58
	s_load_dwordx4 s[8:11], s[0:1], 0x0
	;; [unrolled: 1-line block ×3, first 2 shown]
	v_mul_u32_u24_e32 v1, 0x3c4, v0
	v_lshrrev_b32_e32 v2, 16, v1
	v_mad_u64_u32 v[6:7], s[2:3], s2, 3, v[2:3]
	v_mov_b32_e32 v8, 0
	v_mov_b32_e32 v7, v8
	s_waitcnt lgkmcnt(0)
	v_cmp_lt_u64_e64 s[2:3], s[10:11], 2
	v_mov_b64_e32 v[10:11], 0
	s_and_b64 vcc, exec, s[2:3]
	v_mov_b64_e32 v[2:3], v[10:11]
	v_mov_b64_e32 v[4:5], v[6:7]
	s_cbranch_vccnz .LBB0_8
; %bb.1:
	s_load_dwordx2 s[2:3], s[0:1], 0x10
	s_add_u32 s16, s14, 8
	s_addc_u32 s17, s15, 0
	s_add_u32 s18, s12, 8
	s_addc_u32 s19, s13, 0
	s_waitcnt lgkmcnt(0)
	s_add_u32 s20, s2, 8
	v_mov_b64_e32 v[10:11], 0
	s_addc_u32 s21, s3, 0
	s_mov_b64 s[22:23], 1
	v_mov_b64_e32 v[2:3], v[10:11]
	v_mov_b64_e32 v[12:13], v[6:7]
.LBB0_2:                                ; =>This Inner Loop Header: Depth=1
	s_load_dwordx2 s[24:25], s[20:21], 0x0
                                        ; implicit-def: $vgpr4_vgpr5
	s_waitcnt lgkmcnt(0)
	v_or_b32_e32 v9, s25, v13
	v_cmp_ne_u64_e32 vcc, 0, v[8:9]
	s_and_saveexec_b64 s[2:3], vcc
	s_xor_b64 s[26:27], exec, s[2:3]
	s_cbranch_execz .LBB0_4
; %bb.3:                                ;   in Loop: Header=BB0_2 Depth=1
	v_cvt_f32_u32_e32 v1, s24
	v_cvt_f32_u32_e32 v4, s25
	s_sub_u32 s2, 0, s24
	s_subb_u32 s3, 0, s25
	v_fmac_f32_e32 v1, 0x4f800000, v4
	v_rcp_f32_e32 v1, v1
	s_nop 0
	v_mul_f32_e32 v1, 0x5f7ffffc, v1
	v_mul_f32_e32 v4, 0x2f800000, v1
	v_trunc_f32_e32 v4, v4
	v_fmac_f32_e32 v1, 0xcf800000, v4
	v_cvt_u32_f32_e32 v7, v4
	v_cvt_u32_f32_e32 v1, v1
	v_mul_lo_u32 v4, s2, v7
	v_mul_hi_u32 v9, s2, v1
	v_mul_lo_u32 v5, s3, v1
	v_add_u32_e32 v9, v9, v4
	v_mul_lo_u32 v16, s2, v1
	v_add_u32_e32 v9, v9, v5
	v_mul_hi_u32 v4, v1, v16
	v_mul_hi_u32 v15, v1, v9
	v_mul_lo_u32 v14, v1, v9
	v_mov_b32_e32 v5, v8
	v_lshl_add_u64 v[4:5], v[4:5], 0, v[14:15]
	v_mul_hi_u32 v15, v7, v16
	v_mul_lo_u32 v16, v7, v16
	v_add_co_u32_e32 v4, vcc, v4, v16
	v_mul_hi_u32 v14, v7, v9
	s_nop 0
	v_addc_co_u32_e32 v4, vcc, v5, v15, vcc
	v_mov_b32_e32 v5, v8
	s_nop 0
	v_addc_co_u32_e32 v15, vcc, 0, v14, vcc
	v_mul_lo_u32 v14, v7, v9
	v_lshl_add_u64 v[4:5], v[4:5], 0, v[14:15]
	v_add_co_u32_e32 v1, vcc, v1, v4
	v_mul_lo_u32 v14, s2, v1
	s_nop 0
	v_addc_co_u32_e32 v7, vcc, v7, v5, vcc
	v_mul_lo_u32 v4, s2, v7
	v_mul_hi_u32 v5, s2, v1
	v_add_u32_e32 v4, v5, v4
	v_mul_lo_u32 v5, s3, v1
	v_add_u32_e32 v9, v4, v5
	v_mul_hi_u32 v17, v7, v14
	v_mul_lo_u32 v18, v7, v14
	v_mul_hi_u32 v5, v1, v9
	v_mul_lo_u32 v4, v1, v9
	v_mul_hi_u32 v14, v1, v14
	v_mov_b32_e32 v15, v8
	v_lshl_add_u64 v[4:5], v[14:15], 0, v[4:5]
	v_add_co_u32_e32 v4, vcc, v4, v18
	v_mul_hi_u32 v16, v7, v9
	s_nop 0
	v_addc_co_u32_e32 v4, vcc, v5, v17, vcc
	v_mul_lo_u32 v14, v7, v9
	s_nop 0
	v_addc_co_u32_e32 v15, vcc, 0, v16, vcc
	v_mov_b32_e32 v5, v8
	v_lshl_add_u64 v[4:5], v[4:5], 0, v[14:15]
	v_add_co_u32_e32 v1, vcc, v1, v4
	v_mul_hi_u32 v14, v12, v1
	s_nop 0
	v_addc_co_u32_e32 v7, vcc, v7, v5, vcc
	v_mad_u64_u32 v[4:5], s[2:3], v12, v7, 0
	v_mov_b32_e32 v15, v8
	v_lshl_add_u64 v[4:5], v[14:15], 0, v[4:5]
	v_mad_u64_u32 v[16:17], s[2:3], v13, v1, 0
	v_add_co_u32_e32 v1, vcc, v4, v16
	v_mad_u64_u32 v[14:15], s[2:3], v13, v7, 0
	s_nop 0
	v_addc_co_u32_e32 v4, vcc, v5, v17, vcc
	v_mov_b32_e32 v5, v8
	s_nop 0
	v_addc_co_u32_e32 v15, vcc, 0, v15, vcc
	v_lshl_add_u64 v[4:5], v[4:5], 0, v[14:15]
	v_mul_lo_u32 v1, s25, v4
	v_mul_lo_u32 v7, s24, v5
	v_mad_u64_u32 v[14:15], s[2:3], s24, v4, 0
	v_add3_u32 v1, v15, v7, v1
	v_sub_u32_e32 v7, v13, v1
	v_mov_b32_e32 v9, s25
	v_sub_co_u32_e32 v18, vcc, v12, v14
	v_lshl_add_u64 v[16:17], v[4:5], 0, 1
	s_nop 0
	v_subb_co_u32_e64 v7, s[2:3], v7, v9, vcc
	v_subrev_co_u32_e64 v9, s[2:3], s24, v18
	v_subb_co_u32_e32 v1, vcc, v13, v1, vcc
	s_nop 0
	v_subbrev_co_u32_e64 v7, s[2:3], 0, v7, s[2:3]
	v_cmp_le_u32_e64 s[2:3], s25, v7
	v_cmp_le_u32_e32 vcc, s25, v1
	s_nop 0
	v_cndmask_b32_e64 v14, 0, -1, s[2:3]
	v_cmp_le_u32_e64 s[2:3], s24, v9
	s_nop 1
	v_cndmask_b32_e64 v9, 0, -1, s[2:3]
	v_cmp_eq_u32_e64 s[2:3], s25, v7
	s_nop 1
	v_cndmask_b32_e64 v7, v14, v9, s[2:3]
	v_lshl_add_u64 v[14:15], v[4:5], 0, 2
	v_cmp_ne_u32_e64 s[2:3], 0, v7
	v_cndmask_b32_e64 v9, 0, -1, vcc
	v_cmp_le_u32_e32 vcc, s24, v18
	v_cndmask_b32_e64 v7, v17, v15, s[2:3]
	s_nop 0
	v_cndmask_b32_e64 v15, 0, -1, vcc
	v_cmp_eq_u32_e32 vcc, s25, v1
	s_nop 1
	v_cndmask_b32_e32 v1, v9, v15, vcc
	v_cmp_ne_u32_e32 vcc, 0, v1
	v_cndmask_b32_e64 v1, v16, v14, s[2:3]
	s_nop 0
	v_cndmask_b32_e32 v5, v5, v7, vcc
	v_cndmask_b32_e32 v4, v4, v1, vcc
.LBB0_4:                                ;   in Loop: Header=BB0_2 Depth=1
	s_andn2_saveexec_b64 s[2:3], s[26:27]
	s_cbranch_execz .LBB0_6
; %bb.5:                                ;   in Loop: Header=BB0_2 Depth=1
	v_cvt_f32_u32_e32 v1, s24
	s_sub_i32 s26, 0, s24
	v_rcp_iflag_f32_e32 v1, v1
	s_nop 0
	v_mul_f32_e32 v1, 0x4f7ffffe, v1
	v_cvt_u32_f32_e32 v1, v1
	v_mul_lo_u32 v4, s26, v1
	v_mul_hi_u32 v4, v1, v4
	v_add_u32_e32 v1, v1, v4
	v_mul_hi_u32 v1, v12, v1
	v_mul_lo_u32 v4, v1, s24
	v_sub_u32_e32 v4, v12, v4
	v_add_u32_e32 v5, 1, v1
	v_subrev_u32_e32 v7, s24, v4
	v_cmp_le_u32_e32 vcc, s24, v4
	s_nop 1
	v_cndmask_b32_e32 v4, v4, v7, vcc
	v_cndmask_b32_e32 v1, v1, v5, vcc
	v_add_u32_e32 v5, 1, v1
	v_cmp_le_u32_e32 vcc, s24, v4
	s_nop 1
	v_cndmask_b32_e32 v4, v1, v5, vcc
	v_mov_b32_e32 v5, v8
.LBB0_6:                                ;   in Loop: Header=BB0_2 Depth=1
	s_or_b64 exec, exec, s[2:3]
	v_mad_u64_u32 v[14:15], s[2:3], v4, s24, 0
	s_load_dwordx2 s[2:3], s[18:19], 0x0
	s_add_u32 s22, s22, 1
	v_mul_lo_u32 v1, v5, s24
	v_mul_lo_u32 v7, v4, s25
	s_load_dwordx2 s[24:25], s[16:17], 0x0
	s_addc_u32 s23, s23, 0
	v_add3_u32 v1, v15, v7, v1
	v_sub_co_u32_e32 v7, vcc, v12, v14
	s_add_u32 s16, s16, 8
	s_nop 0
	v_subb_co_u32_e32 v1, vcc, v13, v1, vcc
	s_addc_u32 s17, s17, 0
	s_waitcnt lgkmcnt(0)
	v_mul_lo_u32 v9, s2, v1
	v_mul_lo_u32 v12, s3, v7
	v_mad_u64_u32 v[10:11], s[2:3], s2, v7, v[10:11]
	s_add_u32 s18, s18, 8
	v_add3_u32 v11, v12, v11, v9
	s_addc_u32 s19, s19, 0
	v_mov_b64_e32 v[12:13], s[10:11]
	v_mul_lo_u32 v1, s24, v1
	v_mul_lo_u32 v9, s25, v7
	v_mad_u64_u32 v[2:3], s[2:3], s24, v7, v[2:3]
	s_add_u32 s20, s20, 8
	v_cmp_ge_u64_e32 vcc, s[22:23], v[12:13]
	v_add3_u32 v3, v9, v3, v1
	s_addc_u32 s21, s21, 0
	s_cbranch_vccnz .LBB0_8
; %bb.7:                                ;   in Loop: Header=BB0_2 Depth=1
	v_mov_b64_e32 v[12:13], v[4:5]
	s_branch .LBB0_2
.LBB0_8:
	s_load_dwordx2 s[2:3], s[0:1], 0x28
	s_lshl_b64 s[16:17], s[10:11], 3
	s_add_u32 s10, s14, s16
	s_addc_u32 s11, s15, s17
                                        ; implicit-def: $sgpr14
                                        ; implicit-def: $vgpr61
	s_waitcnt lgkmcnt(0)
	v_cmp_gt_u64_e64 s[0:1], s[2:3], v[4:5]
	v_cmp_le_u64_e32 vcc, s[2:3], v[4:5]
	s_and_saveexec_b64 s[2:3], vcc
	s_xor_b64 s[2:3], exec, s[2:3]
; %bb.9:
	s_mov_b32 s14, 0x3c3c3c4
	v_mul_hi_u32 v1, v0, s14
	v_mul_u32_u24_e32 v1, 0x44, v1
	v_sub_u32_e32 v61, v0, v1
	s_mov_b32 s14, 0
                                        ; implicit-def: $vgpr0
                                        ; implicit-def: $vgpr10_vgpr11
; %bb.10:
	s_or_saveexec_b64 s[2:3], s[2:3]
	s_load_dwordx2 s[10:11], s[10:11], 0x0
	v_mov_b32_e32 v40, s14
	v_mov_b32_e32 v31, s14
                                        ; implicit-def: $vgpr12
                                        ; implicit-def: $vgpr44
                                        ; implicit-def: $vgpr14
                                        ; implicit-def: $vgpr36
                                        ; implicit-def: $vgpr38
                                        ; implicit-def: $vgpr32
                                        ; implicit-def: $vgpr22
                                        ; implicit-def: $vgpr24
                                        ; implicit-def: $vgpr26
                                        ; implicit-def: $vgpr42
                                        ; implicit-def: $vgpr28
                                        ; implicit-def: $vgpr18
                                        ; implicit-def: $vgpr7
                                        ; implicit-def: $vgpr20
                                        ; implicit-def: $vgpr41
                                        ; implicit-def: $vgpr16
                                        ; implicit-def: $vgpr45
                                        ; implicit-def: $vgpr34
                                        ; implicit-def: $vgpr47
                                        ; implicit-def: $vgpr50
                                        ; implicit-def: $vgpr1
                                        ; implicit-def: $vgpr8
                                        ; implicit-def: $vgpr49
	s_xor_b64 exec, exec, s[2:3]
	s_cbranch_execz .LBB0_14
; %bb.11:
	s_add_u32 s12, s12, s16
	s_addc_u32 s13, s13, s17
	s_load_dwordx2 s[12:13], s[12:13], 0x0
	s_mov_b32 s14, 0x3c3c3c4
	v_mov_b32_e32 v31, 0
	v_mov_b32_e32 v40, v31
                                        ; implicit-def: $vgpr44
	s_waitcnt lgkmcnt(0)
	v_mul_lo_u32 v1, s13, v4
	v_mul_lo_u32 v7, s12, v5
	v_mad_u64_u32 v[8:9], s[12:13], s12, v4, 0
	v_add3_u32 v9, v9, v7, v1
	v_mul_hi_u32 v1, v0, s14
	v_mul_u32_u24_e32 v1, 0x44, v1
	v_sub_u32_e32 v61, v0, v1
	v_lshl_add_u64 v[0:1], v[8:9], 3, s[4:5]
	v_lshl_add_u64 v[0:1], v[10:11], 3, v[0:1]
	v_lshlrev_b32_e32 v30, 3, v61
	v_lshl_add_u64 v[36:37], v[0:1], 0, v[30:31]
	s_movk_i32 s4, 0x1000
	v_add_co_u32_e32 v32, vcc, s4, v36
	s_nop 1
	v_addc_co_u32_e32 v33, vcc, 0, v37, vcc
	global_load_dwordx2 v[26:27], v[36:37], off
	global_load_dwordx2 v[18:19], v[36:37], off offset:544
	global_load_dwordx2 v[16:17], v[36:37], off offset:1088
	;; [unrolled: 1-line block ×13, first 2 shown]
	v_cmp_gt_u32_e32 vcc, 34, v61
                                        ; implicit-def: $vgpr33
	s_and_saveexec_b64 s[4:5], vcc
	s_cbranch_execz .LBB0_13
; %bb.12:
	v_add_co_u32_e32 v38, vcc, 0x1000, v36
	s_nop 1
	v_addc_co_u32_e32 v39, vcc, 0, v37, vcc
	global_load_dwordx2 v[30:31], v[36:37], off offset:3808
	global_load_dwordx2 v[32:33], v[38:39], off offset:3792
	s_waitcnt vmcnt(1)
	v_mov_b32_e32 v40, v30
	s_waitcnt vmcnt(0)
	v_mov_b32_e32 v44, v32
.LBB0_13:
	s_or_b64 exec, exec, s[4:5]
	s_waitcnt vmcnt(2)
	v_mov_b32_e32 v30, v1
	v_mov_b32_e32 v36, v13
	;; [unrolled: 1-line block ×4, first 2 shown]
	s_waitcnt vmcnt(1)
	v_mov_b32_e32 v39, v25
	s_waitcnt vmcnt(0)
	v_mov_b32_e32 v32, v11
	v_mov_b32_e32 v23, v0
	;; [unrolled: 1-line block ×11, first 2 shown]
.LBB0_14:
	s_or_b64 exec, exec, s[2:3]
	v_sub_f32_e32 v9, v12, v14
	v_add_f32_e32 v51, v12, v12
	s_mov_b32 s2, 0xaaaaaaab
	v_pk_add_f32 v[14:15], v[50:51], v[8:9] neg_lo:[0,1] neg_hi:[0,1]
	v_mul_hi_u32 v0, v6, s2
	v_add_f32_e32 v17, v50, v50
	v_mov_b32_e32 v35, v14
	v_lshrrev_b32_e32 v0, 1, v0
	v_add_f32_e32 v19, v16, v16
	v_pk_add_f32 v[16:17], v[16:17], v[34:35] neg_lo:[0,1] neg_hi:[0,1]
	v_lshl_add_u32 v0, v0, 1, v0
	v_mov_b32_e32 v21, v16
	v_sub_u32_e32 v0, v6, v0
	v_add_f32_e32 v27, v18, v18
	v_pk_add_f32 v[18:19], v[18:19], v[20:21] neg_lo:[0,1] neg_hi:[0,1]
	v_mul_u32_u24_e32 v0, 0x3fc, v0
	v_mov_b32_e32 v29, v18
	v_pk_add_f32 v[20:21], v[26:27], v[28:29] neg_lo:[0,1] neg_hi:[0,1]
	v_lshlrev_b32_e32 v6, 3, v61
	v_lshlrev_b32_e32 v70, 2, v0
	v_add_u32_e32 v65, 0x44, v61
	v_fma_f32 v12, v26, 2.0, -v20
	v_add3_u32 v48, 0, v6, v70
	v_mov_b32_e32 v13, v20
	v_lshlrev_b32_e32 v0, 3, v65
	v_add_u32_e32 v69, 0x88, v61
	ds_write_b64 v48, v[12:13]
	v_add3_u32 v13, 0, v0, v70
	v_lshlrev_b32_e32 v0, 3, v69
	v_add_u32_e32 v71, 0xcc, v61
	v_mov_b32_e32 v10, v21
	v_mov_b32_e32 v11, v18
	v_add3_u32 v50, 0, v0, v70
	v_lshlrev_b32_e32 v0, 3, v71
	v_add_u32_e32 v72, 0x110, v61
	v_pk_add_f32 v[26:27], v[22:23], v[24:25] neg_lo:[0,1] neg_hi:[0,1]
	ds_write_b64 v13, v[10:11]
	v_mov_b32_e32 v10, v19
	v_mov_b32_e32 v11, v16
	v_add3_u32 v51, 0, v0, v70
	v_add_u32_e32 v74, 0x154, v61
	v_lshlrev_b32_e32 v0, 3, v72
	v_pk_fma_f32 v[22:23], v[22:23], 2.0, v[26:27] op_sel_hi:[1,0,1] neg_lo:[0,0,1] neg_hi:[0,0,1]
	ds_write_b64 v50, v[10:11]
	v_mov_b32_e32 v10, v17
	v_mov_b32_e32 v11, v14
	v_add3_u32 v52, 0, v0, v70
	v_mov_b32_e32 v8, v15
	v_lshlrev_b32_e32 v0, 3, v74
	v_add_u32_e32 v75, 0x198, v61
	v_sub_f32_e32 v25, v40, v44
	ds_write_b64 v51, v[10:11]
	ds_write_b64 v52, v[8:9]
	v_add3_u32 v8, 0, v0, v70
	v_mov_b32_e32 v10, v22
	v_mov_b32_e32 v11, v26
	v_lshlrev_b32_e32 v0, 3, v75
	v_add_u32_e32 v73, 0x1dc, v61
	v_fma_f32 v24, v40, 2.0, -v25
	ds_write_b64 v8, v[10:11]
	v_add3_u32 v54, 0, v0, v70
	v_mov_b32_e32 v10, v23
	v_mov_b32_e32 v11, v27
	v_cmp_gt_u32_e32 vcc, 34, v61
	v_lshlrev_b32_e32 v53, 3, v73
	ds_write_b64 v54, v[10:11]
	s_and_saveexec_b64 s[2:3], vcc
	s_cbranch_execz .LBB0_16
; %bb.15:
	v_add3_u32 v0, 0, v53, v70
	ds_write_b64 v0, v[24:25]
.LBB0_16:
	s_or_b64 exec, exec, s[2:3]
	v_cmp_lt_u32_e64 s[2:3], 59, v61
	v_cmp_gt_u32_e64 s[4:5], 60, v61
	v_lshlrev_b32_e32 v0, 2, v61
	s_waitcnt lgkmcnt(0)
	s_barrier
	s_waitcnt lgkmcnt(0)
                                        ; implicit-def: $vgpr29
	s_and_saveexec_b64 s[12:13], s[4:5]
	s_cbranch_execz .LBB0_18
; %bb.17:
	v_add3_u32 v6, 0, v70, v0
	ds_read_b32 v12, v6
	v_add3_u32 v6, 0, v0, v70
	v_add_u32_e32 v9, 0x400, v6
	ds_read2_b32 v[20:21], v6 offset0:60 offset1:120
	ds_read2_b32 v[18:19], v6 offset0:180 offset1:240
	;; [unrolled: 1-line block ×4, first 2 shown]
	v_add_u32_e32 v9, 0xc00, v6
	v_add_u32_e32 v6, 0x800, v6
	ds_read2_b32 v[10:11], v9 offset0:12 offset1:72
	ds_read2_b32 v[28:29], v9 offset0:132 offset1:192
	;; [unrolled: 1-line block ×4, first 2 shown]
	s_waitcnt lgkmcnt(3)
	v_mov_b32_e32 v24, v11
	s_waitcnt lgkmcnt(2)
	v_mov_b32_e32 v25, v28
	v_mov_b32_e32 v27, v10
	s_waitcnt lgkmcnt(1)
	v_mov_b32_e32 v26, v22
	s_waitcnt lgkmcnt(0)
	v_mov_b32_e32 v9, v34
	v_mov_b32_e32 v22, v35
.LBB0_18:
	s_or_b64 exec, exec, s[12:13]
	v_mov_b32_e32 v6, v43
	v_pk_add_f32 v[34:35], v[42:43], v[6:7] neg_lo:[0,1] neg_hi:[0,1]
	v_add_f32_e32 v11, v42, v42
	v_mov_b32_e32 v10, v1
	v_mov_b32_e32 v42, v49
	;; [unrolled: 1-line block ×3, first 2 shown]
	v_pk_add_f32 v[10:11], v[10:11], v[42:43] neg_lo:[0,1] neg_hi:[0,1]
	v_add_f32_e32 v44, v1, v1
	v_mov_b32_e32 v46, v10
	v_pk_add_f32 v[42:43], v[44:45], v[46:47] neg_lo:[0,1] neg_hi:[0,1]
	v_add_f32_e32 v6, v45, v45
	v_mov_b32_e32 v40, v43
	v_pk_add_f32 v[40:41], v[6:7], v[40:41] neg_lo:[0,1] neg_hi:[0,1]
	v_mov_b32_e32 v6, v11
	v_fma_f32 v44, v7, 2.0, -v41
	v_mov_b32_e32 v7, v34
	v_pk_add_f32 v[38:39], v[36:37], v[38:39] neg_lo:[0,1] neg_hi:[0,1]
	s_barrier
	ds_write_b64 v48, v[6:7]
	v_mov_b32_e32 v6, v40
	v_mov_b32_e32 v7, v43
	v_pk_fma_f32 v[36:37], v[36:37], 2.0, v[38:39] op_sel_hi:[1,0,1] neg_lo:[0,0,1] neg_hi:[0,0,1]
	ds_write_b64 v50, v[6:7]
	v_mov_b32_e32 v6, v42
	v_mov_b32_e32 v7, v10
	v_pk_add_f32 v[32:33], v[30:31], v[32:33] neg_lo:[0,1] neg_hi:[0,1]
	v_mov_b32_e32 v45, v41
	ds_write_b64 v51, v[6:7]
	v_mov_b32_e32 v6, v36
	v_mov_b32_e32 v7, v38
	v_pk_fma_f32 v[30:31], v[30:31], 2.0, v[32:33] op_sel_hi:[1,0,1] neg_lo:[0,0,1] neg_hi:[0,0,1]
	ds_write_b64 v13, v[44:45]
	ds_write_b64 v52, v[6:7]
	v_mov_b32_e32 v6, v37
	v_mov_b32_e32 v7, v39
	ds_write_b64 v8, v[6:7]
	v_mov_b32_e32 v6, v30
	v_mov_b32_e32 v7, v32
	ds_write_b64 v54, v[6:7]
	s_and_saveexec_b64 s[4:5], vcc
	s_cbranch_execz .LBB0_20
; %bb.19:
	v_add3_u32 v1, 0, v53, v70
	v_mov_b32_e32 v6, v31
	v_mov_b32_e32 v7, v33
	ds_write_b64 v1, v[6:7]
.LBB0_20:
	s_or_b64 exec, exec, s[4:5]
	s_waitcnt lgkmcnt(0)
	s_barrier
	s_waitcnt lgkmcnt(0)
                                        ; implicit-def: $vgpr6_vgpr7
	s_and_saveexec_b64 s[4:5], s[2:3]
	s_xor_b64 s[4:5], exec, s[4:5]
; %bb.21:
	v_mov_b64_e32 v[6:7], v[10:11]
; %bb.22:
	s_or_saveexec_b64 s[4:5], s[4:5]
                                        ; implicit-def: $vgpr45
	s_xor_b64 exec, exec, s[4:5]
	s_cbranch_execz .LBB0_24
; %bb.23:
	v_add3_u32 v1, 0, v70, v0
	ds_read_b32 v7, v1
	v_add3_u32 v1, 0, v0, v70
	v_add_u32_e32 v6, 0x400, v1
	ds_read2_b32 v[34:35], v1 offset0:60 offset1:120
	ds_read2_b32 v[46:47], v1 offset0:180 offset1:240
	;; [unrolled: 1-line block ×4, first 2 shown]
	v_add_u32_e32 v6, 0x800, v1
	v_add_u32_e32 v1, 0xc00, v1
	ds_read2_b32 v[36:37], v6 offset0:28 offset1:88
	ds_read2_b32 v[50:51], v6 offset0:148 offset1:208
	;; [unrolled: 1-line block ×4, first 2 shown]
	s_waitcnt lgkmcnt(4)
	v_mov_b32_e32 v6, v42
	v_mov_b32_e32 v11, v7
	;; [unrolled: 1-line block ×3, first 2 shown]
	s_waitcnt lgkmcnt(1)
	v_mov_b32_e32 v33, v44
	s_waitcnt lgkmcnt(0)
	v_mov_b32_e32 v32, v30
	v_mov_b32_e32 v39, v50
	;; [unrolled: 1-line block ×10, first 2 shown]
.LBB0_24:
	s_or_b64 exec, exec, s[4:5]
	v_and_b32_e32 v1, 1, v61
	v_lshlrev_b32_e32 v8, 7, v1
	global_load_dwordx4 v[46:49], v8, s[8:9]
	global_load_dwordx4 v[50:53], v8, s[8:9] offset:16
	global_load_dwordx4 v[54:57], v8, s[8:9] offset:32
	;; [unrolled: 1-line block ×7, first 2 shown]
	s_mov_b32 s12, 0xbf65296c
	s_mov_b32 s4, 0x3ee437d1
	;; [unrolled: 1-line block ×17, first 2 shown]
	s_barrier
	s_waitcnt vmcnt(7)
	v_mul_f32_e32 v79, v20, v47
	v_mul_f32_e32 v8, v34, v47
	;; [unrolled: 1-line block ×3, first 2 shown]
	s_waitcnt vmcnt(4)
	v_mul_f32_e32 v85, v14, v97
	v_fmac_f32_e32 v79, v34, v46
	v_mul_f32_e32 v13, v44, v49
	v_mul_f32_e32 v28, v41, v51
	s_waitcnt vmcnt(0)
	v_mul_f32_e32 v94, v29, v117
	v_mul_f32_e32 v93, v25, v115
	;; [unrolled: 1-line block ×3, first 2 shown]
	v_fmac_f32_e32 v94, v45, v116
	v_mul_f32_e32 v81, v18, v51
	v_mul_f32_e32 v51, v10, v97
	;; [unrolled: 1-line block ×5, first 2 shown]
	v_fma_f32 v62, v20, v46, -v8
	v_fmac_f32_e32 v80, v44, v48
	v_fmac_f32_e32 v85, v10, v96
	;; [unrolled: 1-line block ×3, first 2 shown]
	v_fma_f32 v33, v29, v116, -v76
	v_sub_f32_e32 v10, v79, v94
	v_mul_f32_e32 v47, v43, v55
	v_mul_f32_e32 v83, v16, v55
	;; [unrolled: 1-line block ×5, first 2 shown]
	v_fma_f32 v60, v21, v48, -v13
	v_fma_f32 v67, v14, v96, -v51
	v_fmac_f32_e32 v90, v30, v108
	v_fmac_f32_e32 v92, v31, v112
	v_fma_f32 v31, v25, v114, -v68
	v_add_f32_e32 v14, v62, v33
	v_sub_f32_e32 v30, v80, v93
	v_pk_mul_f32 v[44:45], v[10:11], s[12:13] op_sel_hi:[0,1]
	s_mov_b32 s12, 0xbf1a4643
	v_mul_f32_e32 v49, v42, v57
	v_mul_f32_e32 v84, v17, v57
	;; [unrolled: 1-line block ×6, first 2 shown]
	v_fmac_f32_e32 v81, v41, v50
	v_fma_f32 v41, v16, v54, -v47
	v_fma_f32 v100, v9, v102, -v55
	v_add_f32_e32 v16, v60, v31
	v_pk_fma_f32 v[8:9], v[14:15], s[4:5], v[44:45] op_sel_hi:[0,1,1]
	s_mov_b32 s13, 0x3dbcf732
	v_pk_mul_f32 v[46:47], v[30:31], s[24:25] op_sel_hi:[0,1]
	v_mul_f32_e32 v82, v19, v53
	v_mul_f32_e32 v64, v32, v111
	v_fma_f32 v63, v18, v50, -v28
	v_fmac_f32_e32 v83, v43, v54
	v_fma_f32 v43, v17, v56, -v49
	v_fma_f32 v101, v22, v104, -v57
	v_fmac_f32_e32 v88, v37, v104
	v_fmac_f32_e32 v91, v32, v110
	v_fma_f32 v104, v24, v112, -v66
	v_sub_f32_e32 v32, v81, v92
	v_pk_add_f32 v[8:9], v[12:13], v[8:9] op_sel_hi:[0,1]
	v_pk_fma_f32 v[48:49], v[16:17], s[12:13], v[46:47] op_sel_hi:[0,1,1]
	v_mul_f32_e32 v35, v40, v53
	v_fmac_f32_e32 v82, v40, v52
	v_add_f32_e32 v18, v63, v104
	v_pk_add_f32 v[8:9], v[48:49], v[8:9]
	s_mov_b32 s15, s12
	v_pk_mul_f32 v[48:49], v[32:33], s[16:17] op_sel_hi:[0,1]
	v_fma_f32 v35, v19, v52, -v35
	v_fma_f32 v103, v27, v110, -v64
	v_sub_f32_e32 v34, v82, v91
	v_pk_fma_f32 v[50:51], v[18:19], s[14:15], v[48:49] op_sel_hi:[0,1,1]
	v_mul_f32_e32 v53, v36, v99
	v_mul_f32_e32 v86, v15, v99
	;; [unrolled: 1-line block ×3, first 2 shown]
	v_add_f32_e32 v20, v35, v103
	v_pk_add_f32 v[8:9], v[50:51], v[8:9]
	s_mov_b32 s16, 0xbe8c1d8e
	s_mov_b32 s17, s14
	v_pk_mul_f32 v[50:51], v[34:35], s[22:23] op_sel_hi:[0,1]
	v_mul_f32_e32 v58, v39, v107
	v_fma_f32 v99, v15, v98, -v53
	v_fmac_f32_e32 v86, v36, v98
	v_fmac_f32_e32 v89, v39, v106
	v_fma_f32 v39, v23, v108, -v59
	v_sub_f32_e32 v36, v83, v90
	v_pk_fma_f32 v[52:53], v[20:21], s[16:17], v[50:51] op_sel_hi:[0,1,1]
	v_fmac_f32_e32 v84, v42, v56
	v_add_f32_e32 v22, v41, v39
	v_pk_add_f32 v[8:9], v[52:53], v[8:9]
	v_pk_mul_f32 v[52:53], v[36:37], s[20:21] op_sel_hi:[0,1]
	v_fmac_f32_e32 v87, v38, v102
	v_fma_f32 v102, v26, v106, -v58
	v_sub_f32_e32 v38, v84, v89
	v_pk_fma_f32 v[54:55], v[22:23], s[18:19], v[52:53] op_sel_hi:[0,1,1]
	v_add_f32_e32 v24, v43, v102
	v_pk_add_f32 v[8:9], v[54:55], v[8:9]
	s_mov_b32 s20, 0x3f6eb680
	s_mov_b32 s21, s16
	v_pk_mul_f32 v[54:55], v[38:39], s[26:27] op_sel_hi:[0,1]
	v_sub_f32_e32 v40, v85, v88
	v_pk_fma_f32 v[56:57], v[24:25], s[20:21], v[54:55] op_sel_hi:[0,1,1]
	s_mov_b32 s27, 0x3f65296c
	s_mov_b32 s26, s25
	v_add_f32_e32 v26, v67, v101
	v_pk_add_f32 v[8:9], v[56:57], v[8:9]
	s_mov_b32 s22, s13
	s_mov_b32 s23, s4
	v_pk_mul_f32 v[56:57], v[40:41], s[26:27] op_sel_hi:[0,1]
	s_mov_b32 s26, 0xbf06c442
	v_sub_f32_e32 v42, v86, v87
	v_pk_fma_f32 v[58:59], v[26:27], s[22:23], v[56:57] op_sel_hi:[0,1,1]
	s_mov_b32 s27, 0x3eb8f4ab
	v_add_f32_e32 v28, v99, v100
	v_pk_add_f32 v[8:9], v[58:59], v[8:9]
	s_mov_b32 s24, s19
	s_mov_b32 s25, s20
	v_pk_mul_f32 v[58:59], v[42:43], s[26:27] op_sel_hi:[0,1]
	v_pk_fma_f32 v[76:77], v[28:29], s[24:25], v[58:59] op_sel_hi:[0,1,1]
	v_pk_add_f32 v[8:9], v[76:77], v[8:9]
	s_and_saveexec_b64 s[26:27], s[2:3]
	s_xor_b64 s[26:27], exec, s[26:27]
; %bb.25:
                                        ; implicit-def: $vgpr12
                                        ; implicit-def: $vgpr14
                                        ; implicit-def: $vgpr10
                                        ; implicit-def: $vgpr16
                                        ; implicit-def: $vgpr30
                                        ; implicit-def: $vgpr18
                                        ; implicit-def: $vgpr32
                                        ; implicit-def: $vgpr20
                                        ; implicit-def: $vgpr34
                                        ; implicit-def: $vgpr22
                                        ; implicit-def: $vgpr36
                                        ; implicit-def: $vgpr24
                                        ; implicit-def: $vgpr38
                                        ; implicit-def: $vgpr26
                                        ; implicit-def: $vgpr40
                                        ; implicit-def: $vgpr28
                                        ; implicit-def: $vgpr42
                                        ; implicit-def: $vgpr44_vgpr45
                                        ; implicit-def: $vgpr46_vgpr47
                                        ; implicit-def: $vgpr48_vgpr49
                                        ; implicit-def: $vgpr50_vgpr51
                                        ; implicit-def: $vgpr52_vgpr53
                                        ; implicit-def: $vgpr54_vgpr55
                                        ; implicit-def: $vgpr56_vgpr57
                                        ; implicit-def: $vgpr58_vgpr59
; %bb.26:
	s_or_saveexec_b64 s[26:27], s[26:27]
	v_lshrrev_b32_e32 v37, 1, v61
	s_xor_b64 exec, exec, s[26:27]
	s_cbranch_execz .LBB0_28
; %bb.27:
	v_mul_f32_e32 v13, 0xbe3c28d5, v10
	v_fmamk_f32 v64, v14, 0xbf7ba420, v13
	v_mul_f32_e32 v66, 0x3eb8f4ab, v30
	v_add_f32_e32 v64, v12, v64
	v_fmamk_f32 v68, v16, 0x3f6eb680, v66
	v_add_f32_e32 v64, v68, v64
	v_mul_f32_e32 v68, 0xbf06c442, v32
	v_fmamk_f32 v76, v18, 0xbf59a7d5, v68
	v_add_f32_e32 v64, v76, v64
	v_mul_f32_e32 v76, 0x3f2c7751, v34
	s_mov_b32 s28, 0xbf7ba420
	v_fmamk_f32 v77, v20, 0x3f3d2fb0, v76
	s_mov_b32 s30, 0x3f6eb680
	v_add_f32_e32 v64, v77, v64
	v_mul_f32_e32 v77, 0xbf4c4adb, v36
	v_fma_f32 v13, v14, s28, -v13
	s_mov_b32 s29, 0xbf59a7d5
	v_fmamk_f32 v78, v22, 0xbf1a4643, v77
	v_add_f32_e32 v13, v12, v13
	v_fma_f32 v66, v16, s30, -v66
	s_mov_b32 s33, 0x3f3d2fb0
	v_add_f32_e32 v64, v78, v64
	v_mul_f32_e32 v78, 0x3f65296c, v38
	v_add_f32_e32 v13, v66, v13
	v_fma_f32 v66, v18, s29, -v68
	s_mov_b32 s31, 0xbf1a4643
	v_fmamk_f32 v95, v24, 0x3ee437d1, v78
	v_add_f32_e32 v13, v66, v13
	v_fma_f32 v66, v20, s33, -v76
	s_mov_b32 s34, 0x3ee437d1
	v_add_f32_e32 v64, v95, v64
	v_mul_f32_e32 v95, 0xbf763a35, v40
	v_add_f32_e32 v13, v66, v13
	v_fma_f32 v66, v22, s31, -v77
	s_mov_b32 s35, 0xbe8c1d8e
	v_fmamk_f32 v96, v26, 0xbe8c1d8e, v95
	v_add_f32_e32 v13, v66, v13
	v_fma_f32 v66, v24, s34, -v78
	v_add_f32_e32 v64, v96, v64
	v_mul_f32_e32 v96, 0x3f7ee86f, v42
	s_mov_b32 s36, 0x3dbcf732
	v_add_f32_e32 v13, v66, v13
	v_fma_f32 v66, v26, s35, -v95
	v_add_f32_e32 v13, v66, v13
	v_fma_f32 v66, v28, s36, -v96
	v_add_f32_e32 v13, v66, v13
	v_mul_f32_e32 v66, 0xbf06c442, v10
	v_fmamk_f32 v68, v14, 0xbf59a7d5, v66
	v_mul_f32_e32 v76, 0x3f65296c, v30
	v_add_f32_e32 v68, v12, v68
	v_fmamk_f32 v77, v16, 0x3ee437d1, v76
	v_add_f32_e32 v68, v77, v68
	v_mul_f32_e32 v77, 0xbf7ee86f, v32
	v_fmamk_f32 v78, v18, 0x3dbcf732, v77
	v_add_f32_e32 v68, v78, v68
	v_mul_f32_e32 v78, 0x3f4c4adb, v34
	;; [unrolled: 3-line block ×3, first 2 shown]
	v_fma_f32 v66, v14, s29, -v66
	v_fmamk_f32 v97, v28, 0x3dbcf732, v96
	v_fmamk_f32 v96, v22, 0x3f6eb680, v95
	v_add_f32_e32 v66, v12, v66
	v_fma_f32 v76, v16, s34, -v76
	v_add_f32_e32 v68, v96, v68
	v_mul_f32_e32 v96, 0xbe3c28d5, v38
	v_add_f32_e32 v66, v76, v66
	v_fma_f32 v76, v18, s36, -v77
	v_add_f32_e32 v64, v97, v64
	v_fmamk_f32 v97, v24, 0xbf7ba420, v96
	v_add_f32_e32 v66, v76, v66
	v_fma_f32 v76, v20, s31, -v78
	v_add_f32_e32 v68, v97, v68
	v_mul_f32_e32 v97, 0x3f2c7751, v40
	v_add_f32_e32 v66, v76, v66
	v_fma_f32 v76, v22, s30, -v95
	v_fmamk_f32 v98, v26, 0x3f3d2fb0, v97
	v_add_f32_e32 v66, v76, v66
	v_fma_f32 v76, v24, s28, -v96
	v_add_f32_e32 v68, v98, v68
	v_mul_f32_e32 v98, 0xbf763a35, v42
	v_add_f32_e32 v66, v76, v66
	v_fma_f32 v76, v26, s33, -v97
	v_add_f32_e32 v66, v76, v66
	v_fma_f32 v76, v28, s35, -v98
	v_add_f32_e32 v66, v76, v66
	v_mul_f32_e32 v76, 0xbf4c4adb, v10
	v_fmamk_f32 v77, v14, 0xbf1a4643, v76
	v_mul_f32_e32 v78, 0x3f763a35, v30
	v_add_f32_e32 v77, v12, v77
	v_fmamk_f32 v95, v16, 0xbe8c1d8e, v78
	v_add_f32_e32 v77, v95, v77
	v_mul_f32_e32 v95, 0xbeb8f4ab, v32
	v_fmamk_f32 v96, v18, 0x3f6eb680, v95
	v_add_f32_e32 v77, v96, v77
	v_mul_f32_e32 v96, 0xbf06c442, v34
	;; [unrolled: 3-line block ×3, first 2 shown]
	v_fmamk_f32 v105, v28, 0xbe8c1d8e, v98
	v_fmamk_f32 v98, v22, 0x3dbcf732, v97
	v_add_f32_e32 v77, v98, v77
	v_mul_f32_e32 v98, 0xbf2c7751, v38
	v_add_f32_e32 v68, v105, v68
	v_fmamk_f32 v105, v24, 0x3f3d2fb0, v98
	v_add_f32_e32 v77, v105, v77
	v_mul_f32_e32 v105, 0xbe3c28d5, v40
	v_fmamk_f32 v106, v26, 0xbf7ba420, v105
	v_add_f32_e32 v77, v106, v77
	v_mul_f32_e32 v106, 0x3f65296c, v42
	v_fmamk_f32 v107, v28, 0x3ee437d1, v106
	v_fma_f32 v76, v14, s31, -v76
	v_add_f32_e32 v107, v107, v77
	v_add_f32_e32 v76, v12, v76
	v_fma_f32 v77, v16, s35, -v78
	v_add_f32_e32 v76, v77, v76
	v_fma_f32 v77, v18, s30, -v95
	;; [unrolled: 2-line block ×7, first 2 shown]
	v_add_f32_e32 v78, v77, v76
	v_mul_f32_e32 v76, 0xbf763a35, v10
	v_fmamk_f32 v77, v14, 0xbe8c1d8e, v76
	v_mul_f32_e32 v95, 0x3f06c442, v30
	v_add_f32_e32 v77, v12, v77
	v_fmamk_f32 v96, v16, 0xbf59a7d5, v95
	v_add_f32_e32 v77, v96, v77
	v_mul_f32_e32 v96, 0x3f2c7751, v32
	v_fmamk_f32 v97, v18, 0x3f3d2fb0, v96
	v_add_f32_e32 v77, v97, v77
	v_mul_f32_e32 v97, 0xbf65296c, v34
	;; [unrolled: 3-line block ×6, first 2 shown]
	v_fmamk_f32 v109, v28, 0xbf1a4643, v108
	v_fma_f32 v76, v14, s35, -v76
	v_add_f32_e32 v109, v109, v77
	v_add_f32_e32 v76, v12, v76
	v_fma_f32 v77, v16, s29, -v95
	v_add_f32_e32 v76, v77, v76
	v_fma_f32 v77, v18, s33, -v96
	;; [unrolled: 2-line block ×7, first 2 shown]
	v_add_f32_e32 v95, v77, v76
	v_mul_f32_e32 v76, 0xbf7ee86f, v10
	v_fmamk_f32 v77, v14, 0x3dbcf732, v76
	v_mul_f32_e32 v96, 0xbe3c28d5, v30
	v_add_f32_e32 v77, v12, v77
	v_fmamk_f32 v97, v16, 0xbf7ba420, v96
	v_add_f32_e32 v77, v97, v77
	v_mul_f32_e32 v97, 0x3f763a35, v32
	v_fmamk_f32 v98, v18, 0xbe8c1d8e, v97
	v_add_f32_e32 v77, v98, v77
	v_mul_f32_e32 v98, 0x3eb8f4ab, v34
	;; [unrolled: 3-line block ×6, first 2 shown]
	v_fmamk_f32 v111, v28, 0x3f3d2fb0, v110
	v_fma_f32 v76, v14, s36, -v76
	v_add_f32_e32 v111, v111, v77
	v_add_f32_e32 v76, v12, v76
	v_fma_f32 v77, v16, s28, -v96
	v_add_f32_e32 v76, v77, v76
	v_fma_f32 v77, v18, s35, -v97
	;; [unrolled: 2-line block ×5, first 2 shown]
	v_add_f32_e32 v96, v77, v76
	v_pk_mul_f32 v[76:77], v[14:15], s[4:5] op_sel_hi:[0,1]
	v_pk_add_f32 v[44:45], v[76:77], v[44:45] neg_lo:[0,1] neg_hi:[0,1]
	v_pk_mul_f32 v[76:77], v[16:17], s[12:13] op_sel_hi:[0,1]
	v_pk_add_f32 v[46:47], v[76:77], v[46:47] neg_lo:[0,1] neg_hi:[0,1]
	v_pk_mul_f32 v[76:77], v[18:19], s[14:15] op_sel_hi:[0,1]
	v_fma_f32 v15, v26, s31, -v108
	v_mul_f32_e32 v10, 0xbeb8f4ab, v10
	v_pk_add_f32 v[48:49], v[76:77], v[48:49] neg_lo:[0,1] neg_hi:[0,1]
	v_pk_mul_f32 v[76:77], v[20:21], s[16:17] op_sel_hi:[0,1]
	v_add_f32_e32 v15, v15, v96
	v_pk_mul_f32 v[96:97], v[22:23], s[18:19] op_sel_hi:[0,1]
	v_fmamk_f32 v21, v14, 0x3f6eb680, v10
	v_mul_f32_e32 v23, 0xbf2c7751, v30
	v_fma_f32 v17, v28, s33, -v110
	v_pk_add_f32 v[50:51], v[76:77], v[50:51] neg_lo:[0,1] neg_hi:[0,1]
	v_pk_mul_f32 v[76:77], v[24:25], s[20:21] op_sel_hi:[0,1]
	v_add_f32_e32 v21, v12, v21
	v_fmamk_f32 v25, v16, 0x3f3d2fb0, v23
	v_fma_f32 v10, v14, s30, -v10
	v_add_f32_e32 v15, v17, v15
	v_add_f32_e32 v17, v12, v44
	;; [unrolled: 1-line block ×4, first 2 shown]
	v_mul_f32_e32 v25, 0xbf65296c, v32
	v_add_f32_e32 v10, v12, v10
	v_add_f32_e32 v12, v12, v62
	v_pk_add_f32 v[52:53], v[96:97], v[52:53] neg_lo:[0,1] neg_hi:[0,1]
	v_pk_mul_f32 v[96:97], v[26:27], s[22:23] op_sel_hi:[0,1]
	v_fmamk_f32 v27, v18, 0x3ee437d1, v25
	v_add_f32_e32 v12, v12, v60
	v_add_f32_e32 v21, v27, v21
	v_mul_f32_e32 v27, 0xbf7ee86f, v34
	v_add_f32_e32 v12, v12, v63
	v_pk_add_f32 v[54:55], v[76:77], v[54:55] neg_lo:[0,1] neg_hi:[0,1]
	v_pk_mul_f32 v[76:77], v[28:29], s[24:25] op_sel_hi:[0,1]
	v_fmamk_f32 v29, v20, 0x3dbcf732, v27
	v_add_f32_e32 v12, v12, v35
	v_add_f32_e32 v21, v29, v21
	v_mul_f32_e32 v29, 0xbf763a35, v36
	v_add_f32_e32 v12, v12, v41
	v_fmamk_f32 v30, v22, 0xbe8c1d8e, v29
	v_fma_f32 v14, v16, s33, -v23
	v_add_f32_e32 v12, v12, v43
	v_add_f32_e32 v21, v30, v21
	v_mul_f32_e32 v30, 0xbf4c4adb, v38
	v_add_f32_e32 v10, v14, v10
	v_fma_f32 v14, v18, s34, -v25
	v_add_f32_e32 v12, v12, v67
	v_fmamk_f32 v32, v24, 0xbf1a4643, v30
	v_add_f32_e32 v10, v14, v10
	v_fma_f32 v14, v20, s36, -v27
	v_add_f32_e32 v12, v12, v99
	v_add_f32_e32 v21, v32, v21
	v_mul_f32_e32 v32, 0xbf06c442, v40
	v_add_f32_e32 v10, v14, v10
	v_fma_f32 v14, v22, s35, -v29
	v_add_f32_e32 v12, v12, v100
	v_fmamk_f32 v34, v26, 0xbf59a7d5, v32
	v_add_f32_e32 v10, v14, v10
	v_fma_f32 v14, v24, s31, -v30
	v_add_f32_e32 v12, v12, v101
	v_add_f32_e32 v17, v46, v17
	;; [unrolled: 1-line block ×4, first 2 shown]
	v_mul_f32_e32 v34, 0xbe3c28d5, v42
	v_add_f32_e32 v10, v14, v10
	v_fma_f32 v14, v26, s29, -v32
	v_add_f32_e32 v12, v12, v102
	v_add_f32_e32 v17, v48, v17
	;; [unrolled: 1-line block ×4, first 2 shown]
	v_fma_f32 v14, v28, s28, -v34
	v_add_f32_e32 v12, v12, v39
	v_add_f32_e32 v17, v50, v17
	;; [unrolled: 1-line block ×5, first 2 shown]
	v_mul_u32_u24_e32 v14, 34, v37
	v_add_f32_e32 v17, v52, v17
	v_add_f32_e32 v19, v53, v19
	;; [unrolled: 1-line block ×3, first 2 shown]
	v_or_b32_e32 v14, v14, v1
	v_pk_add_f32 v[56:57], v[96:97], v[56:57] neg_lo:[0,1] neg_hi:[0,1]
	v_add_f32_e32 v17, v54, v17
	v_add_f32_e32 v19, v55, v19
	;; [unrolled: 1-line block ×3, first 2 shown]
	v_lshlrev_b32_e32 v14, 2, v14
	v_add_f32_e32 v17, v56, v17
	v_pk_add_f32 v[58:59], v[76:77], v[58:59] neg_lo:[0,1] neg_hi:[0,1]
	v_add_f32_e32 v19, v57, v19
	v_fmamk_f32 v36, v28, 0xbf7ba420, v34
	v_add_f32_e32 v12, v12, v33
	v_add3_u32 v14, 0, v14, v70
	v_add_f32_e32 v17, v58, v17
	v_add_f32_e32 v19, v59, v19
	;; [unrolled: 1-line block ×3, first 2 shown]
	ds_write2_b32 v14, v12, v10 offset1:2
	ds_write2_b32 v14, v19, v17 offset0:4 offset1:6
	ds_write2_b32 v14, v15, v95 offset0:8 offset1:10
	ds_write2_b32 v14, v78, v66 offset0:12 offset1:14
	ds_write2_b32 v14, v13, v64 offset0:16 offset1:18
	ds_write2_b32 v14, v68, v107 offset0:20 offset1:22
	ds_write2_b32 v14, v109, v111 offset0:24 offset1:26
	ds_write2_b32 v14, v8, v9 offset0:28 offset1:30
	ds_write_b32 v14, v21 offset:128
.LBB0_28:
	s_or_b64 exec, exec, s[26:27]
	v_add_u32_e32 v10, 0, v70
	v_add3_u32 v76, 0, v0, v70
	v_add_u32_e32 v53, v10, v0
	v_add_u32_e32 v12, 0x600, v76
	;; [unrolled: 1-line block ×3, first 2 shown]
	s_waitcnt lgkmcnt(0)
	s_barrier
	ds_read_b32 v98, v53
	ds_read2_b32 v[16:17], v12 offset0:126 offset1:194
	ds_read2_b32 v[18:19], v76 offset0:68 offset1:136
	v_add_u32_e32 v12, 0x800, v76
	ds_read2_b32 v[20:21], v14 offset0:12 offset1:216
	v_add_u32_e32 v14, 0xc00, v76
	v_lshl_add_u32 v78, v74, 2, v10
	ds_read2_b32 v[12:13], v12 offset0:134 offset1:202
	v_lshl_add_u32 v77, v72, 2, v10
	ds_read2_b32 v[14:15], v14 offset0:14 offset1:82
	ds_read_b32 v96, v78
	ds_read_b32 v97, v77
	ds_read_b32 v95, v76 offset:3672
	s_and_saveexec_b64 s[4:5], vcc
	s_cbranch_execz .LBB0_30
; %bb.29:
	ds_read_b32 v8, v76 offset:1904
	ds_read_b32 v9, v76 offset:3944
.LBB0_30:
	s_or_b64 exec, exec, s[4:5]
	s_mov_b32 s12, 0xbf65296c
	v_sub_f32_e32 v68, v62, v33
	s_mov_b32 s4, 0x3ee437d1
	s_mov_b32 s13, 0xbf2c7751
	;; [unrolled: 1-line block ×3, first 2 shown]
	v_add_f32_e32 v66, v79, v94
	v_sub_f32_e32 v64, v60, v31
	s_mov_b32 s5, 0x3f3d2fb0
	v_pk_mul_f32 v[30:31], v[68:69], s[12:13] op_sel_hi:[0,1]
	s_mov_b32 s12, 0xbf1a4643
	s_mov_b32 s25, 0xbf7ee86f
	v_add_f32_e32 v62, v80, v93
	v_sub_f32_e32 v52, v35, v103
	v_pk_fma_f32 v[22:23], v[66:67], s[4:5], v[30:31] op_sel_hi:[0,1,1] neg_lo:[0,0,1] neg_hi:[0,0,1]
	s_mov_b32 s13, 0x3dbcf732
	v_pk_mul_f32 v[34:35], v[64:65], s[24:25] op_sel_hi:[0,1]
	v_sub_f32_e32 v60, v63, v104
	v_sub_f32_e32 v44, v41, v39
	v_pk_add_f32 v[22:23], v[6:7], v[22:23] op_sel:[1,0]
	v_pk_fma_f32 v[38:39], v[62:63], s[12:13], v[34:35] op_sel_hi:[0,1,1] neg_lo:[0,0,1] neg_hi:[0,0,1]
	s_mov_b32 s16, 0x3e3c28d5
	s_mov_b32 s17, s24
	v_add_f32_e32 v58, v81, v92
	v_pk_add_f32 v[22:23], v[38:39], v[22:23]
	s_mov_b32 s15, s12
	v_pk_mul_f32 v[38:39], v[60:61], s[16:17] op_sel_hi:[0,1]
	s_mov_b32 s22, 0x3f763a35
	v_pk_fma_f32 v[40:41], v[58:59], s[14:15], v[38:39] op_sel_hi:[0,1,1] neg_lo:[0,0,1] neg_hi:[0,0,1]
	s_mov_b32 s23, 0xbe3c28d5
	v_add_f32_e32 v50, v82, v91
	v_pk_add_f32 v[22:23], v[40:41], v[22:23]
	s_mov_b32 s16, 0xbe8c1d8e
	s_mov_b32 s17, s14
	v_pk_mul_f32 v[40:41], v[52:53], s[22:23] op_sel_hi:[0,1]
	s_mov_b32 s20, 0x3f2c7751
	v_pk_fma_f32 v[46:47], v[50:51], s[16:17], v[40:41] op_sel_hi:[0,1,1] neg_lo:[0,0,1] neg_hi:[0,0,1]
	s_mov_b32 s21, 0x3f06c442
	v_add_f32_e32 v42, v83, v90
	v_pk_add_f32 v[22:23], v[46:47], v[22:23]
	s_mov_b32 s18, s5
	v_pk_mul_f32 v[46:47], v[44:45], s[20:21] op_sel_hi:[0,1]
	v_sub_f32_e32 v36, v43, v102
	v_pk_fma_f32 v[48:49], v[42:43], s[18:19], v[46:47] op_sel_hi:[0,1,1] neg_lo:[0,0,1] neg_hi:[0,0,1]
	s_mov_b32 s26, 0xbeb8f4ab
	s_mov_b32 s27, s22
	v_add_f32_e32 v32, v84, v89
	v_pk_add_f32 v[22:23], v[48:49], v[22:23]
	s_mov_b32 s20, 0x3f6eb680
	s_mov_b32 s21, s16
	v_pk_mul_f32 v[48:49], v[36:37], s[26:27] op_sel_hi:[0,1]
	v_sub_f32_e32 v28, v67, v101
	v_pk_fma_f32 v[54:55], v[32:33], s[20:21], v[48:49] op_sel_hi:[0,1,1] neg_lo:[0,0,1] neg_hi:[0,0,1]
	s_mov_b32 s27, 0x3f65296c
	s_mov_b32 s26, s25
	v_add_f32_e32 v26, v85, v88
	v_pk_add_f32 v[22:23], v[54:55], v[22:23]
	s_mov_b32 s22, s13
	s_mov_b32 s23, s4
	v_pk_mul_f32 v[54:55], v[28:29], s[26:27] op_sel_hi:[0,1]
	s_mov_b32 s26, 0xbf06c442
	v_sub_f32_e32 v10, v99, v100
	v_pk_fma_f32 v[56:57], v[26:27], s[22:23], v[54:55] op_sel_hi:[0,1,1] neg_lo:[0,0,1] neg_hi:[0,0,1]
	s_mov_b32 s27, 0x3eb8f4ab
	v_add_f32_e32 v24, v86, v87
	v_pk_add_f32 v[22:23], v[56:57], v[22:23]
	s_mov_b32 s24, s19
	s_mov_b32 s25, s20
	v_pk_mul_f32 v[56:57], v[10:11], s[26:27] op_sel_hi:[0,1]
	v_pk_fma_f32 v[100:101], v[24:25], s[24:25], v[56:57] op_sel_hi:[0,1,1] neg_lo:[0,0,1] neg_hi:[0,0,1]
	v_pk_add_f32 v[22:23], v[100:101], v[22:23]
	s_waitcnt lgkmcnt(0)
	s_barrier
	s_and_saveexec_b64 s[26:27], s[2:3]
	s_xor_b64 s[2:3], exec, s[26:27]
; %bb.31:
                                        ; implicit-def: $vgpr6_vgpr7
                                        ; implicit-def: $vgpr11
                                        ; implicit-def: $vgpr1
                                        ; implicit-def: $vgpr79
                                        ; implicit-def: $vgpr80
                                        ; implicit-def: $vgpr81
                                        ; implicit-def: $vgpr82
                                        ; implicit-def: $vgpr83
                                        ; implicit-def: $vgpr84
                                        ; implicit-def: $vgpr85
                                        ; implicit-def: $vgpr86
                                        ; implicit-def: $vgpr87
                                        ; implicit-def: $vgpr88
                                        ; implicit-def: $vgpr89
                                        ; implicit-def: $vgpr90
                                        ; implicit-def: $vgpr91
                                        ; implicit-def: $vgpr92
                                        ; implicit-def: $vgpr93
                                        ; implicit-def: $vgpr94
                                        ; implicit-def: $vgpr66
                                        ; implicit-def: $vgpr68
                                        ; implicit-def: $vgpr62
                                        ; implicit-def: $vgpr64
                                        ; implicit-def: $vgpr58
                                        ; implicit-def: $vgpr60
                                        ; implicit-def: $vgpr50
                                        ; implicit-def: $vgpr52
                                        ; implicit-def: $vgpr42
                                        ; implicit-def: $vgpr44
                                        ; implicit-def: $vgpr32
                                        ; implicit-def: $vgpr36
                                        ; implicit-def: $vgpr26
                                        ; implicit-def: $vgpr28
                                        ; implicit-def: $vgpr24
                                        ; implicit-def: $vgpr10
                                        ; implicit-def: $vgpr30_vgpr31
                                        ; implicit-def: $vgpr34_vgpr35
                                        ; implicit-def: $vgpr38_vgpr39
                                        ; implicit-def: $vgpr40_vgpr41
                                        ; implicit-def: $vgpr46_vgpr47
                                        ; implicit-def: $vgpr48_vgpr49
                                        ; implicit-def: $vgpr54_vgpr55
                                        ; implicit-def: $vgpr56_vgpr57
                                        ; implicit-def: $vgpr37
; %bb.32:
	s_andn2_saveexec_b64 s[2:3], s[2:3]
	s_cbranch_execz .LBB0_34
; %bb.33:
	v_pk_mul_f32 v[100:101], v[66:67], s[4:5] op_sel_hi:[0,1]
	v_pk_mul_f32 v[102:103], v[62:63], s[12:13] op_sel_hi:[0,1]
	;; [unrolled: 1-line block ×6, first 2 shown]
	v_mul_f32_e32 v25, 0xbeb8f4ab, v68
	s_mov_b32 s15, 0x3f6eb680
	v_mul_f32_e32 v29, 0xbf7ee86f, v68
	s_mov_b32 s4, 0x3dbcf732
	;; [unrolled: 2-line block ×6, first 2 shown]
	v_pk_mul_f32 v[110:111], v[32:33], s[20:21] op_sel_hi:[0,1]
	v_pk_mul_f32 v[112:113], v[26:27], s[22:23] op_sel_hi:[0,1]
	v_add_f32_e32 v6, v11, v79
	v_fmamk_f32 v27, v66, 0x3f6eb680, v25
	v_fma_f32 v25, v66, s15, -v25
	v_fmamk_f32 v33, v66, 0x3dbcf732, v29
	v_fma_f32 v29, v66, s4, -v29
	;; [unrolled: 2-line block ×6, first 2 shown]
	v_add_f32_e32 v27, v11, v27
	v_add_f32_e32 v25, v11, v25
	v_add_f32_e32 v33, v11, v33
	v_add_f32_e32 v29, v11, v29
	v_add_f32_e32 v45, v11, v45
	v_add_f32_e32 v43, v11, v43
	v_add_f32_e32 v59, v11, v59
	v_add_f32_e32 v51, v11, v51
	v_add_f32_e32 v67, v11, v67
	v_add_f32_e32 v63, v11, v63
	v_add_f32_e32 v79, v11, v79
	v_add_f32_e32 v11, v11, v66
	v_mul_f32_e32 v66, 0xbf2c7751, v64
	s_mov_b32 s13, 0x3f3d2fb0
	v_fmamk_f32 v68, v62, 0x3f3d2fb0, v66
	v_fma_f32 v66, v62, s13, -v66
	v_add_f32_e32 v25, v66, v25
	v_mul_f32_e32 v66, 0xbe3c28d5, v64
	v_add_f32_e32 v27, v68, v27
	v_fmamk_f32 v68, v62, 0xbf7ba420, v66
	v_fma_f32 v66, v62, s17, -v66
	v_add_f32_e32 v29, v66, v29
	v_mul_f32_e32 v66, 0x3f06c442, v64
	v_add_f32_e32 v33, v68, v33
	;; [unrolled: 5-line block ×3, first 2 shown]
	v_fmamk_f32 v68, v62, 0xbe8c1d8e, v66
	v_fma_f32 v66, v62, s5, -v66
	v_add_f32_e32 v51, v66, v51
	v_mul_f32_e32 v66, 0x3f65296c, v64
	s_mov_b32 s14, 0x3ee437d1
	v_add_f32_e32 v59, v68, v59
	v_fmamk_f32 v68, v62, 0x3ee437d1, v66
	v_fma_f32 v66, v62, s14, -v66
	v_mul_f32_e32 v64, 0x3eb8f4ab, v64
	v_add_f32_e32 v63, v66, v63
	v_fmamk_f32 v66, v62, 0x3f6eb680, v64
	v_fma_f32 v62, v62, s15, -v64
	v_add_f32_e32 v11, v62, v11
	v_mul_f32_e32 v62, 0xbf65296c, v60
	v_fmamk_f32 v64, v58, 0x3ee437d1, v62
	v_fma_f32 v62, v58, s14, -v62
	v_add_f32_e32 v25, v62, v25
	v_mul_f32_e32 v62, 0x3f763a35, v60
	v_add_f32_e32 v27, v64, v27
	v_fmamk_f32 v64, v58, 0xbe8c1d8e, v62
	v_fma_f32 v62, v58, s5, -v62
	v_add_f32_e32 v29, v62, v29
	v_mul_f32_e32 v62, 0x3f2c7751, v60
	v_add_f32_e32 v33, v64, v33
	v_fmamk_f32 v64, v58, 0x3f3d2fb0, v62
	v_fma_f32 v62, v58, s13, -v62
	v_add_f32_e32 v43, v62, v43
	v_mul_f32_e32 v62, 0xbeb8f4ab, v60
	v_add_f32_e32 v45, v64, v45
	v_fmamk_f32 v64, v58, 0x3f6eb680, v62
	v_fma_f32 v62, v58, s15, -v62
	v_add_f32_e32 v51, v62, v51
	v_mul_f32_e32 v62, 0xbf7ee86f, v60
	v_add_f32_e32 v59, v64, v59
	v_fmamk_f32 v64, v58, 0x3dbcf732, v62
	v_fma_f32 v62, v58, s4, -v62
	v_mul_f32_e32 v60, 0xbf06c442, v60
	v_add_f32_e32 v62, v62, v63
	v_fmamk_f32 v63, v58, 0xbf59a7d5, v60
	v_fma_f32 v58, v58, s16, -v60
	v_add_f32_e32 v11, v58, v11
	v_mul_f32_e32 v58, 0xbf7ee86f, v52
	v_fmamk_f32 v60, v50, 0x3dbcf732, v58
	v_fma_f32 v58, v50, s4, -v58
	v_add_f32_e32 v25, v58, v25
	v_mul_f32_e32 v58, 0x3eb8f4ab, v52
	v_add_f32_e32 v27, v60, v27
	v_fmamk_f32 v60, v50, 0x3f6eb680, v58
	v_fma_f32 v58, v50, s15, -v58
	v_add_f32_e32 v29, v58, v29
	v_mul_f32_e32 v58, 0xbf65296c, v52
	v_add_f32_e32 v33, v60, v33
	v_fmamk_f32 v60, v50, 0x3ee437d1, v58
	v_fma_f32 v58, v50, s14, -v58
	v_add_f32_e32 v43, v58, v43
	v_mul_f32_e32 v58, 0xbf06c442, v52
	v_add_f32_e32 v45, v60, v45
	v_fmamk_f32 v60, v50, 0xbf59a7d5, v58
	v_fma_f32 v58, v50, s16, -v58
	v_add_f32_e32 v51, v58, v51
	v_mul_f32_e32 v58, 0x3f4c4adb, v52
	;; [unrolled: 28-line block ×4, first 2 shown]
	v_add_f32_e32 v45, v45, v52
	v_fmamk_f32 v52, v32, 0xbf7ba420, v50
	v_fma_f32 v50, v32, s17, -v50
	v_mul_f32_e32 v36, 0x3f65296c, v36
	v_add_f32_e32 v50, v50, v51
	v_fmamk_f32 v51, v32, 0x3ee437d1, v36
	v_fma_f32 v32, v32, s14, -v36
	v_add_f32_e32 v66, v66, v79
	v_add_f32_e32 v11, v32, v11
	v_mul_f32_e32 v32, 0xbf06c442, v28
	v_add_f32_e32 v63, v63, v66
	v_fmamk_f32 v36, v26, 0xbf59a7d5, v32
	v_fma_f32 v32, v26, s16, -v32
	v_add_f32_e32 v67, v68, v67
	v_add_f32_e32 v62, v62, v63
	;; [unrolled: 1-line block ×3, first 2 shown]
	v_mul_f32_e32 v32, 0x3f4c4adb, v28
	v_add_f32_e32 v64, v64, v67
	v_add_f32_e32 v58, v58, v62
	v_add_f32_e32 v27, v36, v27
	v_fmamk_f32 v36, v26, 0xbf1a4643, v32
	v_fma_f32 v32, v26, s12, -v32
	v_add_f32_e32 v60, v60, v64
	v_add_f32_e32 v51, v51, v58
	;; [unrolled: 1-line block ×3, first 2 shown]
	v_mul_f32_e32 v29, 0xbeb8f4ab, v28
	v_add_f32_e32 v59, v59, v60
	v_fmamk_f32 v32, v26, 0x3f6eb680, v29
	v_fma_f32 v29, v26, s15, -v29
	v_add_f32_e32 v52, v52, v59
	v_add_f32_e32 v59, v29, v42
	v_mul_f32_e32 v29, 0xbe3c28d5, v28
	v_add_f32_e32 v44, v32, v44
	v_fmamk_f32 v32, v26, 0xbf7ba420, v29
	v_fma_f32 v29, v26, s17, -v29
	v_add_f32_e32 v6, v6, v80
	v_add_f32_e32 v60, v29, v43
	v_mul_f32_e32 v29, 0x3f2c7751, v28
	v_add_f32_e32 v6, v6, v81
	v_add_f32_e32 v45, v32, v45
	v_fmamk_f32 v32, v26, 0x3f3d2fb0, v29
	v_fma_f32 v29, v26, s13, -v29
	v_mul_f32_e32 v28, 0xbf763a35, v28
	v_add_f32_e32 v6, v6, v82
	v_add_f32_e32 v50, v29, v50
	v_fmamk_f32 v29, v26, 0xbe8c1d8e, v28
	v_fma_f32 v26, v26, s5, -v28
	v_add_f32_e32 v6, v6, v83
	v_add_f32_e32 v11, v26, v11
	v_mul_f32_e32 v26, 0xbe3c28d5, v10
	v_add_f32_e32 v6, v6, v84
	v_fmamk_f32 v28, v24, 0xbf7ba420, v26
	v_fma_f32 v26, v24, s17, -v26
	v_add_f32_e32 v6, v6, v85
	v_add_f32_e32 v62, v28, v27
	;; [unrolled: 1-line block ×3, first 2 shown]
	v_pk_add_f32 v[26:27], v[30:31], v[100:101]
	v_add_f32_e32 v6, v6, v86
	v_add_f32_e32 v51, v29, v51
	v_pk_add_f32 v[28:29], v[34:35], v[102:103]
	v_add_f32_e32 v27, v7, v27
	v_add_f32_e32 v6, v6, v87
	;; [unrolled: 3-line block ×3, first 2 shown]
	v_add_f32_e32 v36, v36, v33
	v_add_f32_e32 v52, v32, v52
	v_pk_add_f32 v[32:33], v[40:41], v[106:107]
	v_add_f32_e32 v27, v31, v27
	v_add_f32_e32 v7, v7, v26
	;; [unrolled: 1-line block ×3, first 2 shown]
	v_pk_add_f32 v[34:35], v[46:47], v[108:109]
	v_add_f32_e32 v27, v33, v27
	v_add_f32_e32 v7, v28, v7
	v_mul_f32_e32 v26, 0x3f2c7751, v10
	v_mul_f32_e32 v29, 0xbf4c4adb, v10
	v_mul_f32_e32 v31, 0x3f65296c, v10
	v_mul_f32_e32 v33, 0xbf763a35, v10
	v_mul_f32_e32 v10, 0x3f7ee86f, v10
	v_add_f32_e32 v6, v6, v90
	v_add_f32_e32 v27, v35, v27
	;; [unrolled: 1-line block ×3, first 2 shown]
	v_fmamk_f32 v35, v24, 0x3dbcf732, v10
	v_fma_f32 v10, v24, s4, -v10
	v_add_f32_e32 v6, v6, v91
	v_add_f32_e32 v7, v32, v7
	;; [unrolled: 1-line block ×3, first 2 shown]
	v_mul_u32_u24_e32 v11, 34, v37
	v_add_f32_e32 v6, v6, v92
	v_pk_add_f32 v[38:39], v[48:49], v[110:111]
	v_add_f32_e32 v7, v34, v7
	v_or_b32_e32 v1, v11, v1
	v_add_f32_e32 v6, v6, v93
	v_pk_add_f32 v[40:41], v[54:55], v[112:113]
	v_add_f32_e32 v27, v39, v27
	v_add_f32_e32 v7, v38, v7
	v_lshlrev_b32_e32 v1, 2, v1
	v_add_f32_e32 v6, v6, v94
	v_pk_add_f32 v[42:43], v[56:57], v[114:115]
	v_add_f32_e32 v27, v41, v27
	v_add_f32_e32 v7, v40, v7
	v_fmamk_f32 v28, v24, 0x3f3d2fb0, v26
	v_fma_f32 v26, v24, s13, -v26
	v_fmamk_f32 v30, v24, 0xbf1a4643, v29
	v_fma_f32 v29, v24, s12, -v29
	v_fmamk_f32 v32, v24, 0x3ee437d1, v31
	v_fma_f32 v31, v24, s14, -v31
	v_fmamk_f32 v34, v24, 0xbe8c1d8e, v33
	v_fma_f32 v33, v24, s5, -v33
	v_add3_u32 v1, 0, v1, v70
	v_add_f32_e32 v27, v43, v27
	v_add_f32_e32 v7, v42, v7
	;; [unrolled: 1-line block ×11, first 2 shown]
	ds_write2_b32 v1, v6, v62 offset1:2
	ds_write2_b32 v1, v27, v7 offset0:4 offset1:6
	ds_write2_b32 v1, v28, v30 offset0:8 offset1:10
	;; [unrolled: 1-line block ×7, first 2 shown]
	ds_write_b32 v1, v25 offset:128
.LBB0_34:
	s_or_b64 exec, exec, s[2:3]
	v_add_u32_e32 v6, 0x600, v76
	s_waitcnt lgkmcnt(0)
	s_barrier
	ds_read_b32 v1, v53
	ds_read2_b32 v[30:31], v6 offset0:126 offset1:194
	ds_read2_b32 v[24:25], v76 offset0:68 offset1:136
	v_add_u32_e32 v6, 0x800, v76
	ds_read2_b32 v[28:29], v6 offset0:134 offset1:202
	v_add_u32_e32 v6, 0x300, v76
	;; [unrolled: 2-line block ×3, first 2 shown]
	ds_read2_b32 v[26:27], v6 offset0:14 offset1:82
	ds_read_b32 v7, v78
	ds_read_b32 v48, v77
	ds_read_b32 v49, v76 offset:3672
	s_and_saveexec_b64 s[2:3], vcc
	s_cbranch_execz .LBB0_36
; %bb.35:
	ds_read_b32 v22, v76 offset:1904
	ds_read_b32 v23, v76 offset:3944
.LBB0_36:
	s_or_b64 exec, exec, s[2:3]
	v_subrev_u32_e32 v6, 34, v61
	s_movk_i32 s2, 0xf1
	v_cndmask_b32_e32 v54, v6, v61, vcc
	v_mul_lo_u16_sdwa v6, v65, s2 dst_sel:DWORD dst_unused:UNUSED_PAD src0_sel:BYTE_0 src1_sel:DWORD
	v_mul_lo_u16_sdwa v35, v69, s2 dst_sel:DWORD dst_unused:UNUSED_PAD src0_sel:BYTE_0 src1_sel:DWORD
	v_lshrrev_b16_e32 v6, 13, v6
	v_lshrrev_b16_e32 v52, 13, v35
	v_mul_lo_u16_e32 v34, 34, v6
	v_mul_lo_u16_e32 v35, 34, v52
	v_sub_u16_e32 v51, v65, v34
	v_mov_b32_e32 v34, 3
	v_sub_u16_e32 v56, v69, v35
	s_mov_b32 s2, 0xf0f1
	v_lshlrev_b32_sdwa v42, v34, v51 dst_sel:DWORD dst_unused:UNUSED_PAD src0_sel:DWORD src1_sel:BYTE_0
	v_lshlrev_b32_sdwa v43, v34, v56 dst_sel:DWORD dst_unused:UNUSED_PAD src0_sel:DWORD src1_sel:BYTE_0
	v_mul_u32_u24_sdwa v34, v71, s2 dst_sel:DWORD dst_unused:UNUSED_PAD src0_sel:WORD_0 src1_sel:DWORD
	v_lshrrev_b32_e32 v57, 21, v34
	v_mov_b32_e32 v55, 0
	v_mul_lo_u16_e32 v34, 34, v57
	v_lshl_add_u64 v[32:33], v[54:55], 3, s[8:9]
	v_sub_u16_e32 v58, v71, v34
	v_lshlrev_b32_e32 v44, 3, v58
	global_load_dwordx2 v[40:41], v[32:33], off offset:256
	global_load_dwordx2 v[38:39], v42, s[8:9] offset:256
	global_load_dwordx2 v[36:37], v43, s[8:9] offset:256
	;; [unrolled: 1-line block ×3, first 2 shown]
	v_mul_u32_u24_sdwa v32, v72, s2 dst_sel:DWORD dst_unused:UNUSED_PAD src0_sel:WORD_0 src1_sel:DWORD
	v_lshrrev_b32_e32 v59, 21, v32
	v_mul_u32_u24_sdwa v33, v74, s2 dst_sel:DWORD dst_unused:UNUSED_PAD src0_sel:WORD_0 src1_sel:DWORD
	v_mul_u32_u24_sdwa v42, v75, s2 dst_sel:DWORD dst_unused:UNUSED_PAD src0_sel:WORD_0 src1_sel:DWORD
	v_mul_lo_u16_e32 v32, 34, v59
	v_lshrrev_b32_e32 v62, 21, v33
	v_lshrrev_b32_e32 v64, 21, v42
	v_sub_u16_e32 v60, v72, v32
	v_mul_lo_u16_e32 v33, 34, v62
	v_mul_lo_u16_e32 v42, 34, v64
	v_lshlrev_b32_e32 v32, 3, v60
	v_sub_u16_e32 v63, v74, v33
	v_sub_u16_e32 v66, v75, v42
	v_lshlrev_b32_e32 v33, 3, v63
	v_lshlrev_b32_e32 v50, 3, v66
	global_load_dwordx2 v[46:47], v32, s[8:9] offset:256
	global_load_dwordx2 v[44:45], v33, s[8:9] offset:256
	;; [unrolled: 1-line block ×3, first 2 shown]
	v_mul_u32_u24_sdwa v32, v73, s2 dst_sel:DWORD dst_unused:UNUSED_PAD src0_sel:WORD_0 src1_sel:DWORD
	v_lshrrev_b32_e32 v32, 21, v32
	v_mul_lo_u16_e32 v32, 34, v32
	v_sub_u16_e32 v67, v73, v32
	v_lshlrev_b32_e32 v32, 3, v67
	global_load_dwordx2 v[32:33], v32, s[8:9] offset:256
	v_mov_b32_e32 v50, 0x110
	v_cmp_lt_u32_e64 s[2:3], 33, v61
	v_lshlrev_b32_e32 v54, 2, v54
	s_movk_i32 s4, 0x110
	v_cndmask_b32_e64 v50, 0, v50, s[2:3]
	v_add_u32_e32 v50, 0, v50
	v_add3_u32 v50, v50, v54, v70
	v_mov_b32_e32 v82, 2
	v_mad_u32_u24 v6, v6, s4, 0
	s_waitcnt lgkmcnt(0)
	s_barrier
	v_lshlrev_b32_sdwa v51, v82, v51 dst_sel:DWORD dst_unused:UNUSED_PAD src0_sel:DWORD src1_sel:BYTE_0
	v_add3_u32 v51, v6, v51, v70
	v_mad_u32_u24 v6, v52, s4, 0
	s_mov_b32 s2, 0x5040100
	s_waitcnt vmcnt(7)
	v_mul_f32_e32 v54, v30, v41
	v_fma_f32 v54, v16, v40, -v54
	v_sub_f32_e32 v54, v98, v54
	s_waitcnt vmcnt(6)
	v_mul_f32_e32 v68, v31, v39
	v_fma_f32 v81, v98, 2.0, -v54
	v_fma_f32 v68, v17, v38, -v68
	ds_write2_b32 v50, v81, v54 offset1:34
	v_sub_f32_e32 v54, v18, v68
	v_fma_f32 v18, v18, 2.0, -v54
	ds_write2_b32 v51, v18, v54 offset1:34
	v_lshlrev_b32_sdwa v18, v82, v56 dst_sel:DWORD dst_unused:UNUSED_PAD src0_sel:DWORD src1_sel:BYTE_0
	s_waitcnt vmcnt(5)
	v_mul_f32_e32 v73, v28, v37
	v_add3_u32 v52, v6, v18, v70
	v_mad_u32_u24 v6, v57, s4, 0
	v_lshlrev_b32_e32 v18, 2, v58
	v_fma_f32 v73, v12, v36, -v73
	v_add3_u32 v54, v6, v18, v70
	v_perm_b32 v6, v62, v59, s2
	v_sub_f32_e32 v68, v19, v73
	v_pk_mul_lo_u16 v6, v6, s4 op_sel_hi:[1,0]
	v_fma_f32 v19, v19, 2.0, -v68
	v_and_b32_e32 v18, 0xfff0, v6
	s_waitcnt vmcnt(4)
	v_mul_f32_e32 v74, v29, v35
	s_waitcnt vmcnt(3)
	v_mul_f32_e32 v75, v26, v47
	;; [unrolled: 2-line block ×4, first 2 shown]
	ds_write2_b32 v52, v19, v68 offset1:34
	v_add_u32_e32 v18, 0, v18
	v_lshlrev_b32_e32 v19, 2, v60
	v_fma_f32 v74, v13, v34, -v74
	v_fma_f32 v75, v14, v46, -v75
	;; [unrolled: 1-line block ×4, first 2 shown]
	v_add3_u32 v56, v18, v19, v70
	v_add_u32_sdwa v6, v55, v6 dst_sel:DWORD dst_unused:UNUSED_PAD src0_sel:DWORD src1_sel:WORD_1
	v_lshlrev_b32_e32 v18, 2, v63
	v_sub_f32_e32 v73, v20, v74
	v_sub_f32_e32 v74, v97, v75
	;; [unrolled: 1-line block ×4, first 2 shown]
	v_add3_u32 v57, v6, v18, v70
	v_mad_u32_u24 v6, v64, s4, 0
	v_lshlrev_b32_e32 v18, 2, v66
	v_fma_f32 v20, v20, 2.0, -v73
	v_fma_f32 v80, v97, 2.0, -v74
	;; [unrolled: 1-line block ×4, first 2 shown]
	v_add3_u32 v58, v6, v18, v70
	v_lshlrev_b32_e32 v55, 2, v67
	ds_write2_b32 v54, v20, v73 offset1:34
	ds_write2_b32 v56, v80, v74 offset1:34
	ds_write2_b32 v57, v81, v75 offset1:34
	ds_write2_b32 v58, v21, v79 offset1:34
	s_and_saveexec_b64 s[2:3], vcc
	s_cbranch_execz .LBB0_38
; %bb.37:
	s_waitcnt vmcnt(0)
	v_mul_f32_e32 v18, v23, v33
	v_fma_f32 v18, v9, v32, -v18
	v_add3_u32 v6, 0, v55, v70
	v_sub_f32_e32 v18, v8, v18
	v_fma_f32 v8, v8, 2.0, -v18
	v_add_u32_e32 v6, 0xc00, v6
	ds_write2_b32 v6, v8, v18 offset0:184 offset1:218
.LBB0_38:
	s_or_b64 exec, exec, s[2:3]
	v_mul_f32_e32 v8, v16, v41
	v_mul_f32_e32 v16, v17, v39
	;; [unrolled: 1-line block ×3, first 2 shown]
	v_fmac_f32_e32 v8, v30, v40
	v_fmac_f32_e32 v16, v31, v38
	;; [unrolled: 1-line block ×3, first 2 shown]
	v_mul_f32_e32 v13, v13, v35
	v_mul_f32_e32 v17, v95, v43
	v_fmac_f32_e32 v13, v29, v34
	v_mul_f32_e32 v14, v14, v47
	v_mul_f32_e32 v15, v15, v45
	v_fmac_f32_e32 v17, v49, v42
	v_sub_f32_e32 v30, v1, v8
	v_sub_f32_e32 v34, v24, v16
	;; [unrolled: 1-line block ×3, first 2 shown]
	v_fmac_f32_e32 v14, v26, v46
	v_fmac_f32_e32 v15, v27, v44
	v_fma_f32 v31, v1, 2.0, -v30
	v_fma_f32 v35, v24, 2.0, -v34
	;; [unrolled: 1-line block ×3, first 2 shown]
	v_sub_f32_e32 v38, v10, v13
	v_sub_f32_e32 v43, v11, v17
	v_add_u32_e32 v8, 0x800, v76
	v_add_u32_e32 v26, 0x300, v76
	;; [unrolled: 1-line block ×5, first 2 shown]
	v_fma_f32 v39, v10, 2.0, -v38
	v_sub_f32_e32 v40, v48, v14
	v_sub_f32_e32 v42, v7, v15
	v_fma_f32 v44, v11, 2.0, -v43
	s_waitcnt lgkmcnt(0)
	s_barrier
	ds_read_b32 v28, v53
	ds_read2_b32 v[14:15], v8 offset0:100 offset1:168
	ds_read2_b32 v[12:13], v76 offset0:68 offset1:136
	;; [unrolled: 1-line block ×6, first 2 shown]
	ds_read_b32 v29, v78
	ds_read_b32 v27, v77
	v_lshlrev_b32_e32 v6, 1, v61
	v_fma_f32 v41, v48, 2.0, -v40
	v_fma_f32 v7, v7, 2.0, -v42
	s_waitcnt lgkmcnt(0)
	s_barrier
	ds_write2_b32 v50, v31, v30 offset1:34
	ds_write2_b32 v51, v35, v34 offset1:34
	;; [unrolled: 1-line block ×7, first 2 shown]
	s_and_saveexec_b64 s[2:3], vcc
	s_cbranch_execz .LBB0_40
; %bb.39:
	s_waitcnt vmcnt(0)
	v_mul_f32_e32 v7, v9, v33
	v_fmac_f32_e32 v7, v23, v32
	v_sub_f32_e32 v7, v22, v7
	v_fma_f32 v9, v22, 2.0, -v7
	v_add3_u32 v22, 0, v55, v70
	v_add_u32_e32 v22, 0xc00, v22
	ds_write2_b32 v22, v9, v7 offset0:184 offset1:218
.LBB0_40:
	s_or_b64 exec, exec, s[2:3]
	s_movk_i32 s2, 0x79
	v_mul_lo_u16_sdwa v9, v69, s2 dst_sel:DWORD dst_unused:UNUSED_PAD src0_sel:BYTE_0 src1_sel:DWORD
	v_lshrrev_b16_e32 v9, 13, v9
	v_mov_b32_e32 v7, 0
	v_mul_lo_u16_e32 v9, 0x44, v9
	v_lshl_add_u64 v[22:23], v[6:7], 3, s[8:9]
	v_mov_b32_e32 v6, 4
	v_sub_u16_e32 v9, v69, v9
	s_mov_b32 s3, 0xf0f1
	v_lshlrev_b32_sdwa v6, v6, v9 dst_sel:DWORD dst_unused:UNUSED_PAD src0_sel:DWORD src1_sel:BYTE_0
	s_waitcnt lgkmcnt(0)
	s_barrier
	global_load_dwordx4 v[30:33], v[22:23], off offset:528
	global_load_dwordx4 v[34:37], v6, s[8:9] offset:528
	v_mul_u32_u24_sdwa v22, v71, s3 dst_sel:DWORD dst_unused:UNUSED_PAD src0_sel:WORD_0 src1_sel:DWORD
	v_lshrrev_b32_e32 v22, 22, v22
	v_mul_lo_u16_e32 v6, 0x44, v22
	v_mul_u32_u24_sdwa v23, v72, s3 dst_sel:DWORD dst_unused:UNUSED_PAD src0_sel:WORD_0 src1_sel:DWORD
	v_sub_u16_e32 v6, v71, v6
	v_lshrrev_b32_e32 v23, 22, v23
	v_lshlrev_b32_e32 v22, 4, v6
	global_load_dwordx4 v[38:41], v22, s[8:9] offset:528
	v_mul_lo_u16_e32 v22, 0x44, v23
	v_sub_u16_e32 v52, v72, v22
	v_lshlrev_b32_e32 v22, 4, v52
	global_load_dwordx4 v[42:45], v22, s[8:9] offset:528
	ds_read_b32 v58, v53
	ds_read2_b32 v[22:23], v8 offset0:100 offset1:168
	ds_read2_b32 v[46:47], v76 offset0:68 offset1:136
	;; [unrolled: 1-line block ×3, first 2 shown]
	ds_read_b32 v59, v78
	ds_read2_b32 v[50:51], v25 offset0:108 offset1:176
	ds_read2_b32 v[54:55], v24 offset0:92 offset1:160
	;; [unrolled: 1-line block ×3, first 2 shown]
	ds_read_b32 v60, v77
	s_waitcnt lgkmcnt(0)
	s_barrier
	v_lshlrev_b32_e32 v6, 2, v6
	v_add3_u32 v6, 0, v6, v70
	s_waitcnt vmcnt(3)
	v_mul_f32_e32 v62, v59, v31
	v_mul_f32_e32 v64, v23, v33
	;; [unrolled: 1-line block ×6, first 2 shown]
	v_fma_f32 v29, v29, v30, -v62
	v_fma_f32 v15, v15, v32, -v64
	v_mul_f32_e32 v68, v50, v33
	v_mul_f32_e32 v33, v20, v33
	v_fmac_f32_e32 v63, v59, v30
	v_fmac_f32_e32 v66, v23, v32
	v_fma_f32 v11, v11, v30, -v67
	v_fmac_f32_e32 v31, v49, v30
	v_add_f32_e32 v30, v29, v15
	v_fma_f32 v20, v20, v32, -v68
	v_fmac_f32_e32 v33, v50, v32
	v_add_f32_e32 v23, v28, v29
	v_add_f32_e32 v50, v63, v66
	v_fmac_f32_e32 v28, -0.5, v30
	s_waitcnt vmcnt(2)
	v_mul_f32_e32 v30, v54, v35
	v_add_f32_e32 v49, v58, v63
	v_sub_f32_e32 v29, v29, v15
	v_fmac_f32_e32 v58, -0.5, v50
	v_mul_f32_e32 v35, v18, v35
	s_waitcnt vmcnt(0)
	v_mul_f32_e32 v62, v22, v43
	v_mul_f32_e32 v43, v14, v43
	v_fma_f32 v18, v18, v34, -v30
	v_add_f32_e32 v30, v11, v20
	v_sub_f32_e32 v32, v63, v66
	v_add_f32_e32 v15, v23, v15
	v_add_f32_e32 v23, v49, v66
	v_mul_f32_e32 v49, v51, v37
	v_fmac_f32_e32 v43, v22, v42
	v_fmamk_f32 v22, v29, 0xbf5db3d7, v58
	v_fmac_f32_e32 v58, 0x3f5db3d7, v29
	v_add_f32_e32 v29, v12, v11
	v_fma_f32 v12, -0.5, v30, v12
	v_sub_f32_e32 v30, v31, v33
	v_mul_f32_e32 v37, v21, v37
	v_fmamk_f32 v64, v32, 0x3f5db3d7, v28
	v_fmac_f32_e32 v28, 0xbf5db3d7, v32
	v_fma_f32 v21, v21, v36, -v49
	v_fmamk_f32 v32, v30, 0x3f5db3d7, v12
	v_fmac_f32_e32 v12, 0xbf5db3d7, v30
	v_add_f32_e32 v30, v46, v31
	v_add_f32_e32 v31, v31, v33
	v_fmac_f32_e32 v35, v54, v34
	v_fmac_f32_e32 v37, v51, v36
	v_add_f32_e32 v30, v30, v33
	v_fma_f32 v31, -0.5, v31, v46
	v_sub_f32_e32 v11, v11, v20
	v_add_f32_e32 v33, v18, v21
	v_mul_f32_e32 v50, v55, v39
	v_mul_f32_e32 v59, v56, v41
	v_add_f32_e32 v29, v29, v20
	v_fmamk_f32 v20, v11, 0xbf5db3d7, v31
	v_fmac_f32_e32 v31, 0x3f5db3d7, v11
	v_add_f32_e32 v11, v13, v18
	v_fmac_f32_e32 v13, -0.5, v33
	v_sub_f32_e32 v33, v35, v37
	v_mul_f32_e32 v39, v19, v39
	v_mul_f32_e32 v41, v16, v41
	v_fma_f32 v19, v19, v38, -v50
	v_fma_f32 v16, v16, v40, -v59
	v_fmamk_f32 v34, v33, 0x3f5db3d7, v13
	v_fmac_f32_e32 v13, 0xbf5db3d7, v33
	v_add_f32_e32 v33, v47, v35
	v_add_f32_e32 v35, v35, v37
	v_fmac_f32_e32 v39, v55, v38
	v_fmac_f32_e32 v41, v56, v40
	v_fmac_f32_e32 v47, -0.5, v35
	v_sub_f32_e32 v18, v18, v21
	v_add_f32_e32 v35, v19, v16
	v_add_f32_e32 v11, v11, v21
	v_fmamk_f32 v21, v18, 0xbf5db3d7, v47
	v_fmac_f32_e32 v47, 0x3f5db3d7, v18
	v_add_f32_e32 v18, v10, v19
	v_fmac_f32_e32 v10, -0.5, v35
	v_sub_f32_e32 v35, v39, v41
	v_mul_f32_e32 v63, v57, v45
	v_fmamk_f32 v36, v35, 0x3f5db3d7, v10
	v_fmac_f32_e32 v10, 0xbf5db3d7, v35
	v_add_f32_e32 v35, v48, v39
	ds_write2_b32 v76, v15, v64 offset1:68
	ds_write2_b32 v76, v28, v29 offset0:136 offset1:204
	v_add_u32_e32 v15, 0x400, v76
	v_mul_f32_e32 v45, v17, v45
	v_fma_f32 v14, v14, v42, -v62
	v_fma_f32 v17, v17, v44, -v63
	v_add_f32_e32 v33, v33, v37
	v_add_f32_e32 v37, v35, v41
	;; [unrolled: 1-line block ×3, first 2 shown]
	ds_write2_b32 v15, v32, v12 offset0:16 offset1:84
	v_mov_b32_e32 v12, 2
	v_fmac_f32_e32 v45, v57, v44
	v_add_f32_e32 v18, v18, v16
	v_fmac_f32_e32 v48, -0.5, v35
	v_sub_f32_e32 v16, v19, v16
	v_add_f32_e32 v19, v14, v17
	v_lshlrev_b32_sdwa v9, v12, v9 dst_sel:DWORD dst_unused:UNUSED_PAD src0_sel:DWORD src1_sel:BYTE_0
	v_fmamk_f32 v38, v16, 0xbf5db3d7, v48
	v_fmac_f32_e32 v48, 0x3f5db3d7, v16
	v_add_f32_e32 v16, v27, v14
	v_fmac_f32_e32 v27, -0.5, v19
	v_sub_f32_e32 v19, v43, v45
	v_add3_u32 v29, 0, v9, v70
	v_fmamk_f32 v35, v19, 0x3f5db3d7, v27
	v_fmac_f32_e32 v27, 0xbf5db3d7, v19
	v_add_f32_e32 v19, v60, v43
	v_add_u32_e32 v32, 0x400, v29
	v_add_u32_e32 v41, 0x800, v6
	v_lshlrev_b32_e32 v9, 2, v52
	v_add_f32_e32 v39, v19, v45
	v_add_f32_e32 v19, v43, v45
	ds_write2_b32 v32, v11, v34 offset0:152 offset1:220
	ds_write_b32 v29, v13 offset:2176
	ds_write2_b32 v41, v18, v36 offset0:100 offset1:168
	ds_write_b32 v6, v10 offset:2992
	v_add3_u32 v36, 0, v9, v70
	v_add_f32_e32 v16, v16, v17
	v_fmac_f32_e32 v60, -0.5, v19
	v_sub_f32_e32 v14, v14, v17
	v_add_u32_e32 v42, 0xc00, v36
	v_fmamk_f32 v40, v14, 0xbf5db3d7, v60
	v_fmac_f32_e32 v60, 0x3f5db3d7, v14
	ds_write2_b32 v42, v16, v35 offset0:48 offset1:116
	ds_write_b32 v36, v27 offset:3808
	s_waitcnt lgkmcnt(0)
	s_barrier
	ds_read2_b32 v[34:35], v26 offset0:12 offset1:216
	ds_read2_b32 v[18:19], v8 offset0:100 offset1:168
	;; [unrolled: 1-line block ×6, first 2 shown]
	ds_read_b32 v28, v53
	ds_read_b32 v26, v77
	;; [unrolled: 1-line block ×3, first 2 shown]
	s_waitcnt lgkmcnt(0)
	s_barrier
	ds_write2_b32 v76, v23, v22 offset1:68
	ds_write2_b32 v76, v58, v30 offset0:136 offset1:204
	ds_write2_b32 v15, v20, v31 offset0:16 offset1:84
	;; [unrolled: 1-line block ×3, first 2 shown]
	ds_write_b32 v29, v47 offset:2176
	ds_write2_b32 v41, v37, v38 offset0:100 offset1:168
	ds_write_b32 v6, v48 offset:2992
	ds_write2_b32 v42, v39, v40 offset0:48 offset1:116
	ds_write_b32 v36, v60 offset:3808
	s_waitcnt lgkmcnt(0)
	s_barrier
	s_and_saveexec_b64 s[2:3], s[0:1]
	s_cbranch_execz .LBB0_42
; %bb.41:
	v_mov_b32_e32 v1, v7
	v_lshl_add_u64 v[0:1], v[0:1], 3, s[8:9]
	global_load_dwordx4 v[36:39], v[0:1], off offset:1616
	global_load_dwordx4 v[40:43], v[0:1], off offset:1632
	v_mul_lo_u32 v15, s11, v4
	v_mul_lo_u32 v5, s10, v5
	v_mad_u64_u32 v[44:45], s[0:1], s10, v4, 0
	v_lshlrev_b32_e32 v6, 2, v69
	v_add3_u32 v45, v45, v5, v15
	v_lshl_add_u64 v[32:33], v[6:7], 3, s[8:9]
	v_lshlrev_b32_e32 v6, 2, v65
	v_add_u32_e32 v20, 0x600, v76
	v_add_u32_e32 v21, 0xc00, v76
	;; [unrolled: 1-line block ×5, first 2 shown]
	v_lshl_add_u64 v[64:65], v[6:7], 3, s[8:9]
	v_lshl_add_u64 v[44:45], v[44:45], 3, s[6:7]
	ds_read2_b32 v[0:1], v76 offset0:68 offset1:136
	ds_read_b32 v4, v78
	ds_read_b32 v52, v77
	;; [unrolled: 1-line block ×3, first 2 shown]
	ds_read2_b32 v[24:25], v20 offset0:92 offset1:160
	ds_read2_b32 v[20:21], v21 offset0:116 offset1:184
	;; [unrolled: 1-line block ×5, first 2 shown]
	v_lshl_add_u64 v[2:3], v[2:3], 3, v[44:45]
	global_load_dwordx4 v[44:47], v[64:65], off offset:1632
	global_load_dwordx4 v[48:51], v[64:65], off offset:1616
	s_mov_b32 s3, 0xa0a0a0a1
	v_mul_hi_u32 v5, v61, s3
	s_movk_i32 s1, 0xcc
	v_lshrrev_b32_e32 v5, 7, v5
	v_mul_lo_u32 v5, v5, s1
	v_sub_u32_e32 v5, v61, v5
	v_lshlrev_b32_e32 v6, 3, v5
	v_lshl_add_u64 v[64:65], v[2:3], 0, v[6:7]
	s_waitcnt lgkmcnt(0)
	v_mov_b32_e32 v6, v63
	v_mov_b32_e32 v66, v23
	;; [unrolled: 1-line block ×6, first 2 shown]
	s_mov_b32 s0, 0x3f737871
	s_mov_b32 s2, 0x3f167918
	;; [unrolled: 1-line block ×3, first 2 shown]
	v_add_u32_e32 v5, 0x44, v61
	s_waitcnt vmcnt(3)
	v_mov_b32_e32 v68, v39
	v_mov_b32_e32 v69, v38
	v_pk_mul_f32 v[62:63], v[62:63], v[36:37] op_sel:[0,1] op_sel_hi:[0,0]
	s_waitcnt vmcnt(2)
	v_pk_mul_f32 v[70:71], v[30:31], v[40:41] op_sel:[0,1] op_sel_hi:[0,0]
	v_mov_b32_e32 v72, v43
	v_mov_b32_e32 v73, v42
	v_pk_mul_f32 v[68:69], v[6:7], v[68:69] op_sel_hi:[0,1]
	v_pk_fma_f32 v[74:75], v[34:35], v[36:37], v[62:63] neg_lo:[0,0,1] neg_hi:[0,0,1]
	v_pk_fma_f32 v[34:35], v[34:35], v[36:37], v[62:63] op_sel_hi:[0,1,1]
	v_pk_fma_f32 v[36:37], v[18:19], v[40:41], v[70:71] neg_lo:[0,0,1] neg_hi:[0,0,1]
	v_pk_fma_f32 v[40:41], v[18:19], v[40:41], v[70:71] op_sel_hi:[0,1,1]
	v_pk_mul_f32 v[62:63], v[66:67], v[72:73] op_sel_hi:[0,1]
	v_pk_fma_f32 v[54:55], v[54:55], v[38:39], v[68:69] neg_lo:[0,0,1] neg_hi:[0,0,1]
	v_pk_fma_f32 v[38:39], v[56:57], v[38:39], v[68:69] op_sel_hi:[0,1,1]
	v_mov_b32_e32 v75, v35
	v_mov_b32_e32 v37, v41
	v_pk_fma_f32 v[34:35], v[58:59], v[42:43], v[62:63] neg_lo:[0,0,1] neg_hi:[0,0,1]
	v_pk_fma_f32 v[40:41], v[60:61], v[42:43], v[62:63] op_sel_hi:[0,1,1]
	v_mov_b32_e32 v55, v39
	v_mov_b32_e32 v35, v41
	v_pk_add_f32 v[38:39], v[28:29], v[74:75]
	v_pk_add_f32 v[40:41], v[54:55], v[36:37]
	;; [unrolled: 1-line block ×3, first 2 shown]
	v_pk_add_f32 v[42:43], v[74:75], v[34:35] neg_lo:[0,1] neg_hi:[0,1]
	v_pk_add_f32 v[56:57], v[54:55], v[36:37] neg_lo:[0,1] neg_hi:[0,1]
	;; [unrolled: 1-line block ×5, first 2 shown]
	v_pk_add_f32 v[36:37], v[38:39], v[36:37]
	v_pk_fma_f32 v[38:39], v[40:41], 0.5, v[28:29] op_sel_hi:[1,0,1] neg_lo:[1,0,0] neg_hi:[1,0,0]
	v_pk_mul_f32 v[40:41], v[42:43], s[0:1] op_sel_hi:[1,0]
	v_pk_mul_f32 v[68:69], v[56:57], s[2:3] op_sel_hi:[1,0]
	v_pk_add_f32 v[58:59], v[58:59], v[62:63]
	v_pk_add_f32 v[36:37], v[34:35], v[36:37]
	v_pk_add_f32 v[62:63], v[38:39], v[40:41] op_sel:[0,1] op_sel_hi:[1,0]
	v_pk_add_f32 v[38:39], v[38:39], v[40:41] op_sel:[0,1] op_sel_hi:[1,0] neg_lo:[0,1] neg_hi:[0,1]
	global_store_dwordx2 v[64:65], v[36:37], off
	v_pk_add_f32 v[36:37], v[38:39], v[68:69] op_sel:[0,1] op_sel_hi:[1,0] neg_lo:[0,1] neg_hi:[0,1]
	v_pk_add_f32 v[38:39], v[62:63], v[68:69] op_sel:[0,1] op_sel_hi:[1,0]
	v_mov_b32_e32 v41, v37
	v_mov_b32_e32 v40, v38
	v_pk_add_f32 v[34:35], v[74:75], v[34:35]
	v_pk_fma_f32 v[40:41], v[58:59], s[4:5], v[40:41] op_sel_hi:[1,0,1]
	v_pk_fma_f32 v[28:29], v[34:35], 0.5, v[28:29] op_sel_hi:[1,0,1] neg_lo:[1,0,0] neg_hi:[1,0,0]
	v_pk_mul_f32 v[34:35], v[56:57], s[0:1] op_sel_hi:[1,0]
	global_store_dwordx2 v[64:65], v[40:41], off offset:1632
	v_pk_mul_f32 v[40:41], v[42:43], s[2:3] op_sel_hi:[1,0]
	v_pk_add_f32 v[42:43], v[28:29], v[34:35] op_sel:[0,1] op_sel_hi:[1,0] neg_lo:[0,1] neg_hi:[0,1]
	v_pk_add_f32 v[28:29], v[28:29], v[34:35] op_sel:[0,1] op_sel_hi:[1,0]
	v_pk_add_f32 v[54:55], v[54:55], v[74:75] neg_lo:[0,1] neg_hi:[0,1]
	v_pk_add_f32 v[28:29], v[28:29], v[40:41] op_sel:[0,1] op_sel_hi:[1,0] neg_lo:[0,1] neg_hi:[0,1]
	v_pk_add_f32 v[34:35], v[42:43], v[40:41] op_sel:[0,1] op_sel_hi:[1,0]
	v_pk_add_f32 v[54:55], v[54:55], v[66:67]
	v_mov_b32_e32 v40, v34
	v_mov_b32_e32 v41, v29
	;; [unrolled: 1-line block ×3, first 2 shown]
	v_pk_fma_f32 v[40:41], v[54:55], s[4:5], v[40:41] op_sel_hi:[1,0,1]
	v_pk_fma_f32 v[28:29], v[54:55], s[4:5], v[28:29] op_sel_hi:[1,0,1]
	s_movk_i32 s5, 0x1000
	v_mul_hi_u32 v6, v5, s3
	v_add_co_u32_e32 v34, vcc, s5, v64
	v_lshrrev_b32_e32 v13, 7, v6
	s_nop 0
	v_addc_co_u32_e32 v35, vcc, 0, v65, vcc
	v_mov_b32_e32 v37, v39
	v_mul_lo_u32 v6, v13, s1
	global_store_dwordx2 v[34:35], v[28:29], off offset:800
	v_pk_fma_f32 v[28:29], v[58:59], s[4:5], v[36:37] op_sel_hi:[1,0,1]
	v_sub_u32_e32 v6, v5, v6
	s_movk_i32 s5, 0x3fc
	global_store_dwordx2 v[34:35], v[28:29], off offset:2432
	v_mad_u64_u32 v[28:29], s[6:7], v13, s5, v[6:7]
	v_add_u32_e32 v6, 0xcc, v28
	global_store_dwordx2 v[64:65], v[40:41], off offset:3264
	v_lshl_add_u64 v[40:41], v[6:7], 3, v[2:3]
	v_add_u32_e32 v6, 0x198, v28
	v_mov_b32_e32 v29, v7
	v_lshl_add_u64 v[42:43], v[6:7], 3, v[2:3]
	v_add_u32_e32 v6, 0x264, v28
	v_lshl_add_u64 v[38:39], v[28:29], 3, v[2:3]
	v_lshl_add_u64 v[54:55], v[6:7], 3, v[2:3]
	v_add_u32_e32 v6, 0x330, v28
	s_waitcnt vmcnt(5)
	v_pk_mul_f32 v[28:29], v[52:53], v[48:49] op_sel:[0,1] op_sel_hi:[0,0]
	v_pk_fma_f32 v[52:53], v[26:27], v[48:49], v[28:29] neg_lo:[0,0,1] neg_hi:[0,0,1]
	v_pk_fma_f32 v[26:27], v[26:27], v[48:49], v[28:29] op_sel_hi:[0,1,1]
	v_mov_b32_e32 v53, v27
	global_load_dwordx4 v[26:29], v[32:33], off offset:1632
	global_load_dwordx4 v[34:37], v[32:33], off offset:1616
	v_mov_b32_e32 v48, v51
	v_mov_b32_e32 v49, v50
	v_pk_mul_f32 v[32:33], v[24:25], v[48:49] op_sel_hi:[0,1]
	v_pk_fma_f32 v[48:49], v[16:17], v[50:51], v[32:33] neg_lo:[0,0,1] neg_hi:[0,0,1]
	v_pk_fma_f32 v[32:33], v[16:17], v[50:51], v[32:33] op_sel_hi:[0,1,1]
	v_mov_b32_e32 v49, v33
	v_mov_b32_e32 v32, v47
	;; [unrolled: 1-line block ×3, first 2 shown]
	v_pk_mul_f32 v[32:33], v[20:21], v[32:33] op_sel_hi:[0,1]
	v_mov_b32_e32 v16, v31
	v_lshl_add_u64 v[56:57], v[6:7], 3, v[2:3]
	v_pk_fma_f32 v[50:51], v[10:11], v[46:47], v[32:33] neg_lo:[0,0,1] neg_hi:[0,0,1]
	v_pk_fma_f32 v[32:33], v[10:11], v[46:47], v[32:33] op_sel_hi:[0,1,1]
	v_mov_b32_e32 v6, v19
	v_mov_b32_e32 v10, v19
	v_pk_mul_f32 v[18:19], v[16:17], v[44:45] op_sel:[0,1] op_sel_hi:[0,0]
	v_pk_fma_f32 v[30:31], v[6:7], v[44:45], v[18:19] neg_lo:[0,0,1] neg_hi:[0,0,1]
	v_pk_fma_f32 v[18:19], v[10:11], v[44:45], v[18:19] op_sel_hi:[0,1,1]
	v_mov_b32_e32 v31, v19
	v_mov_b32_e32 v51, v33
	v_pk_add_f32 v[44:45], v[48:49], v[30:31]
	v_mov_b32_e32 v46, v8
	v_mov_b32_e32 v47, v0
	v_pk_add_f32 v[18:19], v[52:53], v[50:51] neg_lo:[0,1] neg_hi:[0,1]
	v_pk_fma_f32 v[44:45], v[44:45], 0.5, v[46:47] op_sel_hi:[1,0,1] neg_lo:[1,0,0] neg_hi:[1,0,0]
	v_pk_add_f32 v[58:59], v[52:53], v[48:49] neg_lo:[0,1] neg_hi:[0,1]
	v_pk_add_f32 v[62:63], v[50:51], v[30:31] neg_lo:[0,1] neg_hi:[0,1]
	v_pk_add_f32 v[66:67], v[46:47], v[52:53]
	v_pk_add_f32 v[32:33], v[48:49], v[30:31] neg_lo:[0,1] neg_hi:[0,1]
	v_pk_add_f32 v[58:59], v[58:59], v[62:63]
	v_pk_fma_f32 v[62:63], v[18:19], s[0:1], v[44:45] op_sel:[1,0,0] op_sel_hi:[0,0,1] neg_lo:[1,0,0] neg_hi:[1,0,0]
	v_pk_fma_f32 v[44:45], v[18:19], s[0:1], v[44:45] op_sel:[1,0,0] op_sel_hi:[0,0,1]
	v_pk_add_f32 v[66:67], v[48:49], v[66:67]
	v_pk_fma_f32 v[44:45], v[32:33], s[2:3], v[44:45] op_sel:[1,0,0] op_sel_hi:[0,0,1]
	v_pk_fma_f32 v[62:63], v[32:33], s[2:3], v[62:63] op_sel:[1,0,0] op_sel_hi:[0,0,1] neg_lo:[1,0,0] neg_hi:[1,0,0]
	v_pk_add_f32 v[66:67], v[66:67], v[30:31]
	v_mov_b32_e32 v65, v45
	v_pk_add_f32 v[66:67], v[66:67], v[50:51]
	v_mov_b32_e32 v45, v63
	global_store_dwordx2 v[38:39], v[66:67], off
	v_pk_fma_f32 v[38:39], v[58:59], s[4:5], v[44:45] op_sel_hi:[1,0,1]
	global_store_dwordx2 v[40:41], v[38:39], off
	v_pk_add_f32 v[38:39], v[48:49], v[52:53] neg_lo:[0,1] neg_hi:[0,1]
	v_pk_add_f32 v[30:31], v[30:31], v[50:51] neg_lo:[0,1] neg_hi:[0,1]
	v_add_u32_e32 v0, 0x88, v61
	v_pk_add_f32 v[30:31], v[38:39], v[30:31]
	v_pk_add_f32 v[38:39], v[52:53], v[50:51]
	v_mul_hi_u32 v5, v0, s3
	v_pk_fma_f32 v[38:39], v[38:39], 0.5, v[46:47] op_sel_hi:[1,0,1] neg_lo:[1,0,0] neg_hi:[1,0,0]
	v_lshrrev_b32_e32 v5, 7, v5
	v_pk_fma_f32 v[40:41], v[32:33], s[0:1], v[38:39] op_sel:[1,0,0] op_sel_hi:[0,0,1]
	v_pk_fma_f32 v[32:33], v[32:33], s[0:1], v[38:39] op_sel:[1,0,0] op_sel_hi:[0,0,1] neg_lo:[1,0,0] neg_hi:[1,0,0]
	v_pk_fma_f32 v[32:33], v[18:19], s[2:3], v[32:33] op_sel:[1,0,0] op_sel_hi:[0,0,1]
	v_pk_fma_f32 v[18:19], v[18:19], s[2:3], v[40:41] op_sel:[1,0,0] op_sel_hi:[0,0,1] neg_lo:[1,0,0] neg_hi:[1,0,0]
	v_mov_b32_e32 v39, v33
	v_mov_b32_e32 v33, v19
	v_mul_lo_u32 v6, v5, s1
	v_mov_b32_e32 v64, v62
	v_mov_b32_e32 v38, v18
	v_pk_fma_f32 v[18:19], v[30:31], s[4:5], v[32:33] op_sel_hi:[1,0,1]
	v_sub_u32_e32 v0, v0, v6
	v_pk_fma_f32 v[64:65], v[58:59], s[4:5], v[64:65] op_sel_hi:[1,0,1]
	v_pk_fma_f32 v[38:39], v[30:31], s[4:5], v[38:39] op_sel_hi:[1,0,1]
	global_store_dwordx2 v[42:43], v[18:19], off
	global_store_dwordx2 v[54:55], v[38:39], off
	;; [unrolled: 1-line block ×3, first 2 shown]
	v_mad_u64_u32 v[18:19], s[6:7], v5, s5, v[0:1]
	v_add_u32_e32 v6, 0xcc, v18
	v_lshl_add_u64 v[32:33], v[6:7], 3, v[2:3]
	v_add_u32_e32 v6, 0x198, v18
	v_lshl_add_u64 v[38:39], v[6:7], 3, v[2:3]
	v_add_u32_e32 v6, 0x264, v18
	v_mov_b32_e32 v19, v7
	v_lshl_add_u64 v[40:41], v[6:7], 3, v[2:3]
	v_add_u32_e32 v6, 0x330, v18
	v_lshl_add_u64 v[30:31], v[18:19], 3, v[2:3]
	v_lshl_add_u64 v[2:3], v[6:7], 3, v[2:3]
	v_mov_b32_e32 v0, v17
	v_mov_b32_e32 v6, v17
	;; [unrolled: 1-line block ×3, first 2 shown]
	s_waitcnt vmcnt(5)
	v_mov_b32_e32 v16, v37
	v_mov_b32_e32 v17, v36
	v_pk_mul_f32 v[16:17], v[8:9], v[16:17] op_sel_hi:[0,1]
	v_pk_fma_f32 v[18:19], v[0:1], v[36:37], v[16:17] neg_lo:[0,0,1] neg_hi:[0,0,1]
	v_pk_fma_f32 v[6:7], v[6:7], v[36:37], v[16:17] op_sel_hi:[0,1,1]
	v_mov_b32_e32 v19, v7
	v_pk_mul_f32 v[6:7], v[22:23], v[26:27] op_sel:[0,1] op_sel_hi:[0,0]
	v_pk_fma_f32 v[16:17], v[12:13], v[26:27], v[6:7] neg_lo:[0,0,1] neg_hi:[0,0,1]
	v_pk_fma_f32 v[6:7], v[12:13], v[26:27], v[6:7] op_sel_hi:[0,1,1]
	v_pk_mul_f32 v[4:5], v[4:5], v[34:35] op_sel:[0,1] op_sel_hi:[0,0]
	v_mov_b32_e32 v17, v7
	v_pk_fma_f32 v[6:7], v[14:15], v[34:35], v[4:5] neg_lo:[0,0,1] neg_hi:[0,0,1]
	v_pk_fma_f32 v[4:5], v[14:15], v[34:35], v[4:5] op_sel_hi:[0,1,1]
	v_mov_b32_e32 v0, v11
	v_mov_b32_e32 v4, v11
	;; [unrolled: 1-line block ×5, first 2 shown]
	v_pk_mul_f32 v[10:11], v[8:9], v[10:11] op_sel_hi:[0,1]
	v_mov_b32_e32 v7, v5
	v_pk_fma_f32 v[12:13], v[0:1], v[28:29], v[10:11] neg_lo:[0,0,1] neg_hi:[0,0,1]
	v_pk_fma_f32 v[4:5], v[4:5], v[28:29], v[10:11] op_sel_hi:[0,1,1]
	v_mov_b32_e32 v13, v5
	v_pk_add_f32 v[4:5], v[6:7], v[18:19] neg_lo:[0,1] neg_hi:[0,1]
	v_pk_add_f32 v[10:11], v[12:13], v[16:17] neg_lo:[0,1] neg_hi:[0,1]
	v_mov_b32_e32 v0, v9
	v_pk_add_f32 v[4:5], v[4:5], v[10:11]
	v_pk_add_f32 v[10:11], v[18:19], v[16:17]
	v_pk_add_f32 v[20:21], v[18:19], v[16:17] neg_lo:[0,1] neg_hi:[0,1]
	v_pk_fma_f32 v[8:9], v[10:11], 0.5, v[0:1] op_sel_hi:[1,0,1] neg_lo:[1,0,0] neg_hi:[1,0,0]
	v_pk_add_f32 v[10:11], v[6:7], v[12:13] neg_lo:[0,1] neg_hi:[0,1]
	v_pk_add_f32 v[24:25], v[0:1], v[6:7]
	v_pk_fma_f32 v[14:15], v[10:11], s[0:1], v[8:9] op_sel:[1,0,0] op_sel_hi:[0,0,1] neg_lo:[1,0,0] neg_hi:[1,0,0]
	v_pk_fma_f32 v[8:9], v[10:11], s[0:1], v[8:9] op_sel:[1,0,0] op_sel_hi:[0,0,1]
	v_pk_fma_f32 v[8:9], v[20:21], s[2:3], v[8:9] op_sel:[1,0,0] op_sel_hi:[0,0,1]
	v_pk_fma_f32 v[14:15], v[20:21], s[2:3], v[14:15] op_sel:[1,0,0] op_sel_hi:[0,0,1] neg_lo:[1,0,0] neg_hi:[1,0,0]
	v_mov_b32_e32 v22, v14
	v_mov_b32_e32 v23, v9
	;; [unrolled: 1-line block ×3, first 2 shown]
	v_pk_fma_f32 v[22:23], v[4:5], s[4:5], v[22:23] op_sel_hi:[1,0,1]
	v_pk_fma_f32 v[4:5], v[4:5], s[4:5], v[8:9] op_sel_hi:[1,0,1]
	global_store_dwordx2 v[32:33], v[4:5], off
	v_pk_add_f32 v[4:5], v[6:7], v[12:13]
	v_pk_add_f32 v[24:25], v[24:25], v[18:19]
	v_pk_fma_f32 v[0:1], v[4:5], 0.5, v[0:1] op_sel_hi:[1,0,1] neg_lo:[1,0,0] neg_hi:[1,0,0]
	v_pk_add_f32 v[4:5], v[18:19], v[6:7] neg_lo:[0,1] neg_hi:[0,1]
	v_pk_add_f32 v[6:7], v[16:17], v[12:13] neg_lo:[0,1] neg_hi:[0,1]
	v_pk_add_f32 v[24:25], v[24:25], v[16:17]
	v_pk_add_f32 v[4:5], v[4:5], v[6:7]
	v_pk_fma_f32 v[6:7], v[20:21], s[0:1], v[0:1] op_sel:[1,0,0] op_sel_hi:[0,0,1]
	v_pk_fma_f32 v[0:1], v[20:21], s[0:1], v[0:1] op_sel:[1,0,0] op_sel_hi:[0,0,1] neg_lo:[1,0,0] neg_hi:[1,0,0]
	v_pk_fma_f32 v[0:1], v[10:11], s[2:3], v[0:1] op_sel:[1,0,0] op_sel_hi:[0,0,1]
	v_pk_fma_f32 v[6:7], v[10:11], s[2:3], v[6:7] op_sel:[1,0,0] op_sel_hi:[0,0,1] neg_lo:[1,0,0] neg_hi:[1,0,0]
	v_mov_b32_e32 v9, v1
	v_mov_b32_e32 v1, v7
	v_pk_add_f32 v[24:25], v[12:13], v[24:25]
	v_mov_b32_e32 v8, v6
	v_pk_fma_f32 v[0:1], v[4:5], s[4:5], v[0:1] op_sel_hi:[1,0,1]
	global_store_dwordx2 v[30:31], v[24:25], off
	v_pk_fma_f32 v[8:9], v[4:5], s[4:5], v[8:9] op_sel_hi:[1,0,1]
	global_store_dwordx2 v[38:39], v[0:1], off
	global_store_dwordx2 v[40:41], v[8:9], off
	;; [unrolled: 1-line block ×3, first 2 shown]
.LBB0_42:
	s_endpgm
	.section	.rodata,"a",@progbits
	.p2align	6, 0x0
	.amdhsa_kernel fft_rtc_fwd_len1020_factors_2_17_2_3_5_wgs_204_tpt_68_halfLds_sp_op_CI_CI_unitstride_sbrr_dirReg
		.amdhsa_group_segment_fixed_size 0
		.amdhsa_private_segment_fixed_size 0
		.amdhsa_kernarg_size 104
		.amdhsa_user_sgpr_count 2
		.amdhsa_user_sgpr_dispatch_ptr 0
		.amdhsa_user_sgpr_queue_ptr 0
		.amdhsa_user_sgpr_kernarg_segment_ptr 1
		.amdhsa_user_sgpr_dispatch_id 0
		.amdhsa_user_sgpr_kernarg_preload_length 0
		.amdhsa_user_sgpr_kernarg_preload_offset 0
		.amdhsa_user_sgpr_private_segment_size 0
		.amdhsa_uses_dynamic_stack 0
		.amdhsa_enable_private_segment 0
		.amdhsa_system_sgpr_workgroup_id_x 1
		.amdhsa_system_sgpr_workgroup_id_y 0
		.amdhsa_system_sgpr_workgroup_id_z 0
		.amdhsa_system_sgpr_workgroup_info 0
		.amdhsa_system_vgpr_workitem_id 0
		.amdhsa_next_free_vgpr 118
		.amdhsa_next_free_sgpr 37
		.amdhsa_accum_offset 120
		.amdhsa_reserve_vcc 1
		.amdhsa_float_round_mode_32 0
		.amdhsa_float_round_mode_16_64 0
		.amdhsa_float_denorm_mode_32 3
		.amdhsa_float_denorm_mode_16_64 3
		.amdhsa_dx10_clamp 1
		.amdhsa_ieee_mode 1
		.amdhsa_fp16_overflow 0
		.amdhsa_tg_split 0
		.amdhsa_exception_fp_ieee_invalid_op 0
		.amdhsa_exception_fp_denorm_src 0
		.amdhsa_exception_fp_ieee_div_zero 0
		.amdhsa_exception_fp_ieee_overflow 0
		.amdhsa_exception_fp_ieee_underflow 0
		.amdhsa_exception_fp_ieee_inexact 0
		.amdhsa_exception_int_div_zero 0
	.end_amdhsa_kernel
	.text
.Lfunc_end0:
	.size	fft_rtc_fwd_len1020_factors_2_17_2_3_5_wgs_204_tpt_68_halfLds_sp_op_CI_CI_unitstride_sbrr_dirReg, .Lfunc_end0-fft_rtc_fwd_len1020_factors_2_17_2_3_5_wgs_204_tpt_68_halfLds_sp_op_CI_CI_unitstride_sbrr_dirReg
                                        ; -- End function
	.section	.AMDGPU.csdata,"",@progbits
; Kernel info:
; codeLenInByte = 12616
; NumSgprs: 43
; NumVgprs: 118
; NumAgprs: 0
; TotalNumVgprs: 118
; ScratchSize: 0
; MemoryBound: 0
; FloatMode: 240
; IeeeMode: 1
; LDSByteSize: 0 bytes/workgroup (compile time only)
; SGPRBlocks: 5
; VGPRBlocks: 14
; NumSGPRsForWavesPerEU: 43
; NumVGPRsForWavesPerEU: 118
; AccumOffset: 120
; Occupancy: 4
; WaveLimiterHint : 1
; COMPUTE_PGM_RSRC2:SCRATCH_EN: 0
; COMPUTE_PGM_RSRC2:USER_SGPR: 2
; COMPUTE_PGM_RSRC2:TRAP_HANDLER: 0
; COMPUTE_PGM_RSRC2:TGID_X_EN: 1
; COMPUTE_PGM_RSRC2:TGID_Y_EN: 0
; COMPUTE_PGM_RSRC2:TGID_Z_EN: 0
; COMPUTE_PGM_RSRC2:TIDIG_COMP_CNT: 0
; COMPUTE_PGM_RSRC3_GFX90A:ACCUM_OFFSET: 29
; COMPUTE_PGM_RSRC3_GFX90A:TG_SPLIT: 0
	.text
	.p2alignl 6, 3212836864
	.fill 256, 4, 3212836864
	.type	__hip_cuid_dae3609e32eceae0,@object ; @__hip_cuid_dae3609e32eceae0
	.section	.bss,"aw",@nobits
	.globl	__hip_cuid_dae3609e32eceae0
__hip_cuid_dae3609e32eceae0:
	.byte	0                               ; 0x0
	.size	__hip_cuid_dae3609e32eceae0, 1

	.ident	"AMD clang version 19.0.0git (https://github.com/RadeonOpenCompute/llvm-project roc-6.4.0 25133 c7fe45cf4b819c5991fe208aaa96edf142730f1d)"
	.section	".note.GNU-stack","",@progbits
	.addrsig
	.addrsig_sym __hip_cuid_dae3609e32eceae0
	.amdgpu_metadata
---
amdhsa.kernels:
  - .agpr_count:     0
    .args:
      - .actual_access:  read_only
        .address_space:  global
        .offset:         0
        .size:           8
        .value_kind:     global_buffer
      - .offset:         8
        .size:           8
        .value_kind:     by_value
      - .actual_access:  read_only
        .address_space:  global
        .offset:         16
        .size:           8
        .value_kind:     global_buffer
      - .actual_access:  read_only
        .address_space:  global
        .offset:         24
        .size:           8
        .value_kind:     global_buffer
      - .actual_access:  read_only
        .address_space:  global
        .offset:         32
        .size:           8
        .value_kind:     global_buffer
      - .offset:         40
        .size:           8
        .value_kind:     by_value
      - .actual_access:  read_only
        .address_space:  global
        .offset:         48
        .size:           8
        .value_kind:     global_buffer
      - .actual_access:  read_only
        .address_space:  global
        .offset:         56
        .size:           8
        .value_kind:     global_buffer
      - .offset:         64
        .size:           4
        .value_kind:     by_value
      - .actual_access:  read_only
        .address_space:  global
        .offset:         72
        .size:           8
        .value_kind:     global_buffer
      - .actual_access:  read_only
        .address_space:  global
        .offset:         80
        .size:           8
        .value_kind:     global_buffer
      - .actual_access:  read_only
        .address_space:  global
        .offset:         88
        .size:           8
        .value_kind:     global_buffer
      - .actual_access:  write_only
        .address_space:  global
        .offset:         96
        .size:           8
        .value_kind:     global_buffer
    .group_segment_fixed_size: 0
    .kernarg_segment_align: 8
    .kernarg_segment_size: 104
    .language:       OpenCL C
    .language_version:
      - 2
      - 0
    .max_flat_workgroup_size: 204
    .name:           fft_rtc_fwd_len1020_factors_2_17_2_3_5_wgs_204_tpt_68_halfLds_sp_op_CI_CI_unitstride_sbrr_dirReg
    .private_segment_fixed_size: 0
    .sgpr_count:     43
    .sgpr_spill_count: 0
    .symbol:         fft_rtc_fwd_len1020_factors_2_17_2_3_5_wgs_204_tpt_68_halfLds_sp_op_CI_CI_unitstride_sbrr_dirReg.kd
    .uniform_work_group_size: 1
    .uses_dynamic_stack: false
    .vgpr_count:     118
    .vgpr_spill_count: 0
    .wavefront_size: 64
amdhsa.target:   amdgcn-amd-amdhsa--gfx950
amdhsa.version:
  - 1
  - 2
...

	.end_amdgpu_metadata
